;; amdgpu-corpus repo=ROCm/rocFFT kind=compiled arch=gfx906 opt=O3
	.text
	.amdgcn_target "amdgcn-amd-amdhsa--gfx906"
	.amdhsa_code_object_version 6
	.protected	bluestein_single_back_len1764_dim1_dp_op_CI_CI ; -- Begin function bluestein_single_back_len1764_dim1_dp_op_CI_CI
	.globl	bluestein_single_back_len1764_dim1_dp_op_CI_CI
	.p2align	8
	.type	bluestein_single_back_len1764_dim1_dp_op_CI_CI,@function
bluestein_single_back_len1764_dim1_dp_op_CI_CI: ; @bluestein_single_back_len1764_dim1_dp_op_CI_CI
; %bb.0:
	s_load_dwordx4 s[16:19], s[4:5], 0x28
	s_mov_b64 s[30:31], s[2:3]
	v_mul_u32_u24_e32 v1, 0x209, v0
	s_mov_b64 s[28:29], s[0:1]
	v_add_u32_sdwa v4, s6, v1 dst_sel:DWORD dst_unused:UNUSED_PAD src0_sel:DWORD src1_sel:WORD_1
	v_mov_b32_e32 v5, 0
	s_add_u32 s28, s28, s7
	s_waitcnt lgkmcnt(0)
	v_cmp_gt_u64_e32 vcc, s[16:17], v[4:5]
	s_addc_u32 s29, s29, 0
	s_and_saveexec_b64 s[0:1], vcc
	s_cbranch_execz .LBB0_18
; %bb.1:
	s_load_dwordx4 s[0:3], s[4:5], 0x18
	s_load_dwordx4 s[12:15], s[4:5], 0x0
	v_mov_b32_e32 v5, v4
                                        ; implicit-def: $vgpr136_vgpr137
	s_waitcnt lgkmcnt(0)
	s_load_dwordx4 s[8:11], s[0:1], 0x0
	s_movk_i32 s0, 0x7e
	v_mul_lo_u16_sdwa v1, v1, s0 dst_sel:DWORD dst_unused:UNUSED_PAD src0_sel:WORD_1 src1_sel:DWORD
	v_sub_u16_e32 v17, v0, v1
	buffer_store_dword v5, off, s[28:31], 0 offset:80 ; 4-byte Folded Spill
	s_nop 0
	buffer_store_dword v6, off, s[28:31], 0 offset:84 ; 4-byte Folded Spill
	s_waitcnt lgkmcnt(0)
	v_mad_u64_u32 v[0:1], s[6:7], s10, v4, 0
	v_mad_u64_u32 v[2:3], s[6:7], s8, v17, 0
	v_lshlrev_b32_e32 v16, 4, v17
	s_mul_i32 s1, s9, 0x3720
	v_mad_u64_u32 v[4:5], s[6:7], s11, v4, v[1:2]
	v_mad_u64_u32 v[5:6], s[6:7], s9, v17, v[3:4]
	v_mov_b32_e32 v1, v4
	v_lshlrev_b64 v[0:1], 4, v[0:1]
	v_mov_b32_e32 v6, s19
	v_mov_b32_e32 v3, v5
	v_add_co_u32_e32 v4, vcc, s18, v0
	v_addc_co_u32_e32 v5, vcc, v6, v1, vcc
	v_lshlrev_b64 v[0:1], 4, v[2:3]
	s_mul_hi_u32 s6, s8, 0x3720
	v_add_co_u32_e32 v8, vcc, v4, v0
	v_addc_co_u32_e32 v9, vcc, v5, v1, vcc
	v_mov_b32_e32 v0, s13
	v_add_co_u32_e32 v24, vcc, s12, v16
	v_addc_co_u32_e32 v25, vcc, 0, v0, vcc
	s_add_i32 s1, s6, s1
	s_mul_i32 s6, s8, 0x3720
	v_mov_b32_e32 v0, s1
	v_add_co_u32_e32 v10, vcc, s6, v8
	v_addc_co_u32_e32 v11, vcc, v9, v0, vcc
	s_movk_i32 s7, 0x3000
	v_add_co_u32_e32 v18, vcc, s7, v24
	s_mul_i32 s7, s9, 0xffffd0c0
	s_mul_hi_u32 s9, s8, 0xffffd0c0
	s_sub_i32 s9, s9, s8
	v_addc_co_u32_e32 v19, vcc, 0, v25, vcc
	s_add_i32 s7, s9, s7
	s_mulk_i32 s8, 0xd0c0
	global_load_dwordx4 v[0:3], v[8:9], off
	global_load_dwordx4 v[4:7], v[10:11], off
	v_mov_b32_e32 v8, s7
	v_add_co_u32_e32 v20, vcc, s8, v10
	v_addc_co_u32_e32 v21, vcc, v11, v8, vcc
	v_mov_b32_e32 v8, s1
	v_add_co_u32_e32 v22, vcc, s6, v20
	global_load_dwordx4 v[52:55], v16, s[12:13]
	global_load_dwordx4 v[27:30], v16, s[12:13] offset:2016
	v_addc_co_u32_e32 v23, vcc, v21, v8, vcc
	global_load_dwordx4 v[8:11], v[20:21], off
	global_load_dwordx4 v[12:15], v[22:23], off
	global_load_dwordx4 v[35:38], v[18:19], off offset:1824
	global_load_dwordx4 v[31:34], v[18:19], off offset:3840
	v_mov_b32_e32 v19, s7
	v_add_co_u32_e32 v18, vcc, s8, v22
	v_addc_co_u32_e32 v19, vcc, v23, v19, vcc
	global_load_dwordx4 v[56:59], v[18:19], off
	global_load_dwordx4 v[39:42], v16, s[12:13] offset:4032
	v_mov_b32_e32 v20, s1
	v_add_co_u32_e32 v18, vcc, s6, v18
	v_addc_co_u32_e32 v19, vcc, v19, v20, vcc
	s_movk_i32 s9, 0x4000
	v_add_co_u32_e32 v20, vcc, s9, v24
	v_addc_co_u32_e32 v21, vcc, 0, v25, vcc
	global_load_dwordx4 v[60:63], v[18:19], off
	v_mov_b32_e32 v22, s7
	v_add_co_u32_e32 v18, vcc, s8, v18
	v_addc_co_u32_e32 v19, vcc, v19, v22, vcc
	s_movk_i32 s9, 0x1000
	v_add_co_u32_e32 v22, vcc, s9, v24
	v_addc_co_u32_e32 v23, vcc, 0, v25, vcc
	global_load_dwordx4 v[64:67], v[18:19], off
	v_mov_b32_e32 v26, s1
	v_add_co_u32_e32 v18, vcc, s6, v18
	v_addc_co_u32_e32 v19, vcc, v19, v26, vcc
	global_load_dwordx4 v[68:71], v[18:19], off
	global_load_dwordx4 v[100:103], v[20:21], off offset:1760
	global_load_dwordx4 v[96:99], v[20:21], off offset:3776
	v_mov_b32_e32 v20, s7
	v_add_co_u32_e32 v18, vcc, s8, v18
	v_addc_co_u32_e32 v19, vcc, v19, v20, vcc
	global_load_dwordx4 v[72:75], v[18:19], off
	global_load_dwordx4 v[108:111], v[22:23], off offset:1952
	global_load_dwordx4 v[104:107], v[22:23], off offset:3968
	v_mov_b32_e32 v20, s1
	v_add_co_u32_e32 v18, vcc, s6, v18
	v_addc_co_u32_e32 v19, vcc, v19, v20, vcc
	s_movk_i32 s9, 0x5000
	v_add_co_u32_e32 v20, vcc, s9, v24
	v_addc_co_u32_e32 v21, vcc, 0, v25, vcc
	global_load_dwordx4 v[76:79], v[18:19], off
	v_mov_b32_e32 v22, s7
	v_add_co_u32_e32 v18, vcc, s8, v18
	v_addc_co_u32_e32 v19, vcc, v19, v22, vcc
	s_movk_i32 s9, 0x2000
	v_add_co_u32_e32 v22, vcc, s9, v24
	v_addc_co_u32_e32 v23, vcc, 0, v25, vcc
	global_load_dwordx4 v[80:83], v[18:19], off
	v_add_co_u32_e32 v18, vcc, s6, v18
	v_addc_co_u32_e32 v19, vcc, v19, v26, vcc
	global_load_dwordx4 v[84:87], v[18:19], off
	global_load_dwordx4 v[120:123], v[20:21], off offset:1696
	global_load_dwordx4 v[112:115], v[20:21], off offset:3712
	v_mov_b32_e32 v20, s7
	v_add_co_u32_e32 v18, vcc, s8, v18
	v_addc_co_u32_e32 v19, vcc, v19, v20, vcc
	global_load_dwordx4 v[88:91], v[18:19], off
	global_load_dwordx4 v[48:51], v[22:23], off offset:1888
	global_load_dwordx4 v[116:119], v[22:23], off offset:3904
	v_mov_b32_e32 v20, s1
	v_add_co_u32_e32 v18, vcc, s6, v18
	v_addc_co_u32_e32 v19, vcc, v19, v20, vcc
	s_waitcnt vmcnt(19)
	v_mul_f64 v[22:23], v[6:7], v[37:38]
	s_movk_i32 s1, 0x6000
	global_load_dwordx4 v[92:95], v[18:19], off
	v_add_co_u32_e32 v18, vcc, s1, v24
	v_addc_co_u32_e32 v19, vcc, 0, v25, vcc
	global_load_dwordx4 v[44:47], v[18:19], off offset:1632
	v_mul_f64 v[24:25], v[4:5], v[37:38]
	v_fma_f64 v[4:5], v[4:5], v[35:36], v[22:23]
	buffer_store_dword v35, off, s[28:31], 0 offset:32 ; 4-byte Folded Spill
	s_nop 0
	buffer_store_dword v36, off, s[28:31], 0 offset:36 ; 4-byte Folded Spill
	buffer_store_dword v37, off, s[28:31], 0 offset:40 ; 4-byte Folded Spill
	;; [unrolled: 1-line block ×3, first 2 shown]
	v_mul_f64 v[18:19], v[2:3], v[54:55]
	v_mul_f64 v[20:21], v[0:1], v[54:55]
	s_waitcnt vmcnt(24)
	v_mul_f64 v[22:23], v[14:15], v[33:34]
	s_load_dwordx4 s[8:11], s[2:3], 0x0
	s_movk_i32 s1, 0x17a
	s_load_dwordx2 s[2:3], s[4:5], 0x38
	v_fma_f64 v[0:1], v[0:1], v[52:53], v[18:19]
	v_fma_f64 v[2:3], v[2:3], v[52:53], -v[20:21]
	v_mul_f64 v[18:19], v[10:11], v[29:30]
	v_mul_f64 v[20:21], v[8:9], v[29:30]
	v_fma_f64 v[6:7], v[6:7], v[35:36], -v[24:25]
	ds_write_b128 v16, v[0:3]
	ds_write_b128 v16, v[4:7] offset:14112
	v_fma_f64 v[0:1], v[8:9], v[27:28], v[18:19]
	buffer_store_dword v27, off, s[28:31], 0 ; 4-byte Folded Spill
	s_nop 0
	buffer_store_dword v28, off, s[28:31], 0 offset:4 ; 4-byte Folded Spill
	buffer_store_dword v29, off, s[28:31], 0 offset:8 ; 4-byte Folded Spill
	;; [unrolled: 1-line block ×3, first 2 shown]
	v_mul_f64 v[24:25], v[12:13], v[33:34]
	v_fma_f64 v[4:5], v[12:13], v[31:32], v[22:23]
	buffer_store_dword v31, off, s[28:31], 0 offset:16 ; 4-byte Folded Spill
	s_nop 0
	buffer_store_dword v32, off, s[28:31], 0 offset:20 ; 4-byte Folded Spill
	buffer_store_dword v33, off, s[28:31], 0 offset:24 ; 4-byte Folded Spill
	;; [unrolled: 1-line block ×3, first 2 shown]
	s_waitcnt vmcnt(30)
	v_mul_f64 v[8:9], v[58:59], v[41:42]
	s_waitcnt vmcnt(26)
	v_mul_f64 v[12:13], v[62:63], v[102:103]
	v_add_co_u32_e32 v18, vcc, s0, v17
	s_movk_i32 s0, 0xfc
	v_fma_f64 v[2:3], v[10:11], v[27:28], -v[20:21]
	v_mul_f64 v[10:11], v[56:57], v[41:42]
	s_waitcnt vmcnt(25)
	v_mul_f64 v[19:20], v[68:69], v[98:99]
	v_fma_f64 v[6:7], v[14:15], v[31:32], -v[24:25]
	v_mul_f64 v[14:15], v[60:61], v[102:103]
	ds_write_b128 v16, v[0:3] offset:2016
	ds_write_b128 v16, v[4:7] offset:16128
	v_fma_f64 v[0:1], v[56:57], v[39:40], v[8:9]
	buffer_store_dword v39, off, s[28:31], 0 offset:48 ; 4-byte Folded Spill
	s_nop 0
	buffer_store_dword v40, off, s[28:31], 0 offset:52 ; 4-byte Folded Spill
	buffer_store_dword v41, off, s[28:31], 0 offset:56 ; 4-byte Folded Spill
	buffer_store_dword v42, off, s[28:31], 0 offset:60 ; 4-byte Folded Spill
	v_fma_f64 v[4:5], v[60:61], v[100:101], v[12:13]
	buffer_store_dword v100, off, s[28:31], 0 offset:88 ; 4-byte Folded Spill
	s_nop 0
	buffer_store_dword v101, off, s[28:31], 0 offset:92 ; 4-byte Folded Spill
	buffer_store_dword v102, off, s[28:31], 0 offset:96 ; 4-byte Folded Spill
	;; [unrolled: 1-line block ×3, first 2 shown]
	s_waitcnt vmcnt(31)
	v_mul_f64 v[8:9], v[66:67], v[110:111]
	s_waitcnt vmcnt(26)
	v_mul_f64 v[21:22], v[76:77], v[122:123]
	;; [unrolled: 2-line block ×3, first 2 shown]
	v_mul_f64 v[25:26], v[88:89], v[118:119]
	v_and_b32_e32 v27, 1, v17
	v_lshlrev_b32_e32 v28, 1, v18
	v_fma_f64 v[60:61], v[88:89], v[116:117], v[23:24]
	v_fma_f64 v[2:3], v[58:59], v[39:40], -v[10:11]
	v_mul_f64 v[11:12], v[64:65], v[110:111]
	v_fma_f64 v[6:7], v[62:63], v[100:101], -v[14:15]
	v_mul_f64 v[13:14], v[70:71], v[98:99]
	ds_write_b128 v16, v[0:3] offset:4032
	ds_write_b128 v16, v[4:7] offset:18144
	v_fma_f64 v[0:1], v[64:65], v[108:109], v[8:9]
	buffer_store_dword v108, off, s[28:31], 0 offset:120 ; 4-byte Folded Spill
	s_nop 0
	buffer_store_dword v109, off, s[28:31], 0 offset:124 ; 4-byte Folded Spill
	buffer_store_dword v110, off, s[28:31], 0 offset:128 ; 4-byte Folded Spill
	;; [unrolled: 1-line block ×3, first 2 shown]
	v_fma_f64 v[4:5], v[68:69], v[96:97], v[13:14]
	buffer_store_dword v96, off, s[28:31], 0 offset:64 ; 4-byte Folded Spill
	s_nop 0
	buffer_store_dword v97, off, s[28:31], 0 offset:68 ; 4-byte Folded Spill
	buffer_store_dword v98, off, s[28:31], 0 offset:72 ; 4-byte Folded Spill
	;; [unrolled: 1-line block ×3, first 2 shown]
	v_mul_f64 v[13:14], v[72:73], v[106:107]
	s_waitcnt vmcnt(28)
	v_mul_f64 v[64:65], v[94:95], v[46:47]
	v_add_co_u32_e32 v10, vcc, s0, v17
	v_add_co_u32_e32 v9, vcc, s1, v17
	s_movk_i32 s1, 0x1f8
	v_add_co_u32_e32 v8, vcc, s1, v17
	v_fma_f64 v[64:65], v[92:93], v[44:45], v[64:65]
	v_lshlrev_b32_e32 v29, 1, v10
	v_lshlrev_b32_e32 v30, 1, v9
	;; [unrolled: 1-line block ×3, first 2 shown]
	s_movk_i32 s1, 0x5fc
	v_fma_f64 v[2:3], v[66:67], v[108:109], -v[11:12]
	v_mul_f64 v[11:12], v[74:75], v[106:107]
	v_fma_f64 v[6:7], v[70:71], v[96:97], -v[19:20]
	v_mul_f64 v[19:20], v[78:79], v[122:123]
	ds_write_b128 v16, v[0:3] offset:6048
	ds_write_b128 v16, v[4:7] offset:20160
	v_fma_f64 v[0:1], v[72:73], v[104:105], v[11:12]
	buffer_store_dword v104, off, s[28:31], 0 offset:104 ; 4-byte Folded Spill
	s_nop 0
	buffer_store_dword v105, off, s[28:31], 0 offset:108 ; 4-byte Folded Spill
	buffer_store_dword v106, off, s[28:31], 0 offset:112 ; 4-byte Folded Spill
	;; [unrolled: 1-line block ×3, first 2 shown]
	v_fma_f64 v[4:5], v[76:77], v[120:121], v[19:20]
	buffer_store_dword v120, off, s[28:31], 0 offset:168 ; 4-byte Folded Spill
	s_nop 0
	buffer_store_dword v121, off, s[28:31], 0 offset:172 ; 4-byte Folded Spill
	buffer_store_dword v122, off, s[28:31], 0 offset:176 ; 4-byte Folded Spill
	;; [unrolled: 1-line block ×3, first 2 shown]
	v_mul_f64 v[19:20], v[86:87], v[114:115]
	v_mul_f64 v[66:67], v[92:93], v[46:47]
	;; [unrolled: 1-line block ×3, first 2 shown]
	v_fma_f64 v[56:57], v[84:85], v[112:113], v[19:20]
	v_fma_f64 v[66:67], v[94:95], v[44:45], -v[66:67]
	v_fma_f64 v[11:12], v[80:81], v[48:49], v[11:12]
	v_fma_f64 v[2:3], v[74:75], v[104:105], -v[13:14]
	v_mul_f64 v[13:14], v[80:81], v[50:51]
	v_fma_f64 v[6:7], v[78:79], v[120:121], -v[21:22]
	v_mul_f64 v[21:22], v[84:85], v[114:115]
	buffer_store_dword v112, off, s[28:31], 0 offset:136 ; 4-byte Folded Spill
	s_nop 0
	buffer_store_dword v113, off, s[28:31], 0 offset:140 ; 4-byte Folded Spill
	buffer_store_dword v114, off, s[28:31], 0 offset:144 ; 4-byte Folded Spill
	;; [unrolled: 1-line block ×4, first 2 shown]
	s_nop 0
	buffer_store_dword v117, off, s[28:31], 0 offset:156 ; 4-byte Folded Spill
	buffer_store_dword v118, off, s[28:31], 0 offset:160 ; 4-byte Folded Spill
	;; [unrolled: 1-line block ×3, first 2 shown]
	v_fma_f64 v[13:14], v[82:83], v[48:49], -v[13:14]
	v_fma_f64 v[58:59], v[86:87], v[112:113], -v[21:22]
	;; [unrolled: 1-line block ×3, first 2 shown]
	ds_write_b128 v16, v[0:3] offset:8064
	ds_write_b128 v16, v[4:7] offset:22176
	;; [unrolled: 1-line block ×6, first 2 shown]
	s_waitcnt vmcnt(0) lgkmcnt(0)
	s_barrier
	ds_read_b128 v[1:4], v16 offset:14112
	ds_read_b128 v[11:14], v16
	ds_read_b128 v[56:59], v16 offset:2016
	ds_read_b128 v[60:63], v16 offset:16128
	;; [unrolled: 1-line block ×10, first 2 shown]
	s_waitcnt lgkmcnt(10)
	v_add_f64 v[1:2], v[11:12], -v[1:2]
	v_add_f64 v[3:4], v[13:14], -v[3:4]
	ds_read_b128 v[96:99], v16 offset:24192
	ds_read_b128 v[100:103], v16 offset:26208
	s_waitcnt lgkmcnt(10)
	v_add_f64 v[60:61], v[56:57], -v[60:61]
	v_add_f64 v[62:63], v[58:59], -v[62:63]
	s_waitcnt lgkmcnt(8)
	v_add_f64 v[64:65], v[68:69], -v[64:65]
	v_add_f64 v[66:67], v[70:71], -v[66:67]
	;; [unrolled: 3-line block ×6, first 2 shown]
	v_fma_f64 v[11:12], v[11:12], 2.0, -v[1:2]
	v_fma_f64 v[13:14], v[13:14], 2.0, -v[3:4]
	;; [unrolled: 1-line block ×14, first 2 shown]
	v_lshlrev_b32_e32 v5, 5, v17
	s_barrier
	ds_write_b128 v5, v[11:14]
	ds_write_b128 v5, v[1:4] offset:16
	v_lshlrev_b32_e32 v1, 5, v18
	ds_write_b128 v1, v[56:59]
	buffer_store_dword v1, off, s[28:31], 0 offset:236 ; 4-byte Folded Spill
	ds_write_b128 v1, v[60:63] offset:16
	v_lshlrev_b32_e32 v1, 5, v10
	v_lshlrev_b32_e32 v0, 1, v17
	ds_write_b128 v1, v[68:71]
	buffer_store_dword v1, off, s[28:31], 0 offset:240 ; 4-byte Folded Spill
	ds_write_b128 v1, v[64:67] offset:16
	v_lshlrev_b32_e32 v1, 5, v9
	ds_write_b128 v1, v[72:75]
	buffer_store_dword v1, off, s[28:31], 0 offset:244 ; 4-byte Folded Spill
	ds_write_b128 v1, v[76:79] offset:16
	v_lshlrev_b32_e32 v1, 5, v8
	v_add_u32_e32 v7, 0x4ec, v0
	ds_write_b128 v1, v[84:87]
	buffer_store_dword v1, off, s[28:31], 0 offset:248 ; 4-byte Folded Spill
	ds_write_b128 v1, v[80:83] offset:16
	v_lshlrev_b32_e32 v2, 4, v7
	v_lshlrev_b32_e32 v1, 4, v0
	v_add_u32_e32 v15, 0x5e8, v0
	ds_write_b128 v1, v[88:91] offset:20160
	buffer_store_dword v2, off, s[28:31], 0 offset:252 ; 4-byte Folded Spill
	ds_write_b128 v2, v[96:99] offset:16
	v_lshlrev_b32_e32 v2, 4, v15
	ds_write_b128 v1, v[92:95] offset:24192
	v_lshlrev_b32_e32 v1, 4, v27
	buffer_store_dword v2, off, s[28:31], 0 offset:256 ; 4-byte Folded Spill
	ds_write_b128 v2, v[100:103] offset:16
	s_waitcnt vmcnt(0) lgkmcnt(0)
	s_barrier
	global_load_dwordx4 v[104:107], v1, s[14:15]
	ds_read_b128 v[1:4], v16 offset:14112
	ds_read_b128 v[11:14], v16
	ds_read_b128 v[56:59], v16 offset:2016
	ds_read_b128 v[60:63], v16 offset:16128
	;; [unrolled: 1-line block ×12, first 2 shown]
	v_and_or_b32 v0, v0, s0, v27
	v_lshlrev_b32_e32 v0, 4, v0
	s_movk_i32 s0, 0x1fc
	s_waitcnt vmcnt(0) lgkmcnt(0)
	s_barrier
	buffer_store_dword v0, off, s[28:31], 0 offset:200 ; 4-byte Folded Spill
	v_mul_f64 v[5:6], v[3:4], v[106:107]
	v_mul_f64 v[19:20], v[1:2], v[106:107]
	;; [unrolled: 1-line block ×8, first 2 shown]
	v_fma_f64 v[1:2], v[1:2], v[104:105], -v[5:6]
	v_fma_f64 v[3:4], v[3:4], v[104:105], v[19:20]
	v_fma_f64 v[5:6], v[60:61], v[104:105], -v[21:22]
	v_fma_f64 v[19:20], v[62:63], v[104:105], v[23:24]
	v_mul_f64 v[21:22], v[66:67], v[106:107]
	v_mul_f64 v[23:24], v[64:65], v[106:107]
	v_mul_f64 v[60:61], v[76:77], v[106:107]
	v_mul_f64 v[62:63], v[82:83], v[106:107]
	v_fma_f64 v[25:26], v[76:77], v[104:105], -v[25:26]
	v_fma_f64 v[108:109], v[82:83], v[104:105], v[108:109]
	v_mul_f64 v[82:83], v[100:101], v[106:107]
	v_add_f64 v[1:2], v[11:12], -v[1:2]
	v_fma_f64 v[21:22], v[64:65], v[104:105], -v[21:22]
	v_fma_f64 v[23:24], v[66:67], v[104:105], v[23:24]
	v_fma_f64 v[76:77], v[78:79], v[104:105], v[60:61]
	v_fma_f64 v[78:79], v[80:81], v[104:105], -v[62:63]
	v_mul_f64 v[80:81], v[102:103], v[106:107]
	v_add_f64 v[3:4], v[13:14], -v[3:4]
	v_fma_f64 v[110:111], v[96:97], v[104:105], -v[110:111]
	v_fma_f64 v[112:113], v[98:99], v[104:105], v[112:113]
	v_add_f64 v[60:61], v[56:57], -v[5:6]
	v_add_f64 v[62:63], v[58:59], -v[19:20]
	;; [unrolled: 1-line block ×4, first 2 shown]
	v_fma_f64 v[5:6], v[100:101], v[104:105], -v[80:81]
	v_fma_f64 v[19:20], v[102:103], v[104:105], v[82:83]
	v_add_f64 v[96:97], v[72:73], -v[25:26]
	v_add_f64 v[98:99], v[74:75], -v[76:77]
	v_fma_f64 v[11:12], v[11:12], 2.0, -v[1:2]
	v_fma_f64 v[13:14], v[13:14], 2.0, -v[3:4]
	v_add_f64 v[100:101], v[88:89], -v[78:79]
	v_add_f64 v[102:103], v[90:91], -v[108:109]
	v_fma_f64 v[80:81], v[56:57], 2.0, -v[60:61]
	v_fma_f64 v[82:83], v[58:59], 2.0, -v[62:63]
	;; [unrolled: 4-line block ×4, first 2 shown]
	v_fma_f64 v[88:89], v[88:89], 2.0, -v[100:101]
	v_fma_f64 v[90:91], v[90:91], 2.0, -v[102:103]
	ds_write_b128 v0, v[11:14]
	ds_write_b128 v0, v[1:4] offset:32
	v_and_or_b32 v0, v28, s0, v27
	v_lshlrev_b32_e32 v0, 4, v0
	s_movk_i32 s0, 0x3fc
	v_fma_f64 v[92:93], v[92:93], 2.0, -v[108:109]
	v_fma_f64 v[94:95], v[94:95], 2.0, -v[110:111]
	ds_write_b128 v0, v[80:83]
	buffer_store_dword v0, off, s[28:31], 0 offset:204 ; 4-byte Folded Spill
	ds_write_b128 v0, v[60:63] offset:32
	v_and_or_b32 v0, v29, s0, v27
	v_lshlrev_b32_e32 v0, 4, v0
	v_fma_f64 v[56:57], v[84:85], 2.0, -v[76:77]
	v_fma_f64 v[58:59], v[86:87], 2.0, -v[78:79]
	ds_write_b128 v0, v[68:71]
	buffer_store_dword v0, off, s[28:31], 0 offset:208 ; 4-byte Folded Spill
	ds_write_b128 v0, v[64:67] offset:32
	v_and_or_b32 v0, v30, s0, v27
	v_lshlrev_b32_e32 v0, 4, v0
	s_movk_i32 s0, 0x7fc
	ds_write_b128 v0, v[72:75]
	buffer_store_dword v0, off, s[28:31], 0 offset:212 ; 4-byte Folded Spill
	ds_write_b128 v0, v[96:99] offset:32
	v_and_or_b32 v0, v31, s0, v27
	v_lshlrev_b32_e32 v0, 4, v0
	ds_write_b128 v0, v[88:91]
	buffer_store_dword v0, off, s[28:31], 0 offset:216 ; 4-byte Folded Spill
	ds_write_b128 v0, v[100:103] offset:32
	v_and_or_b32 v0, v7, s1, v27
	v_lshlrev_b32_e32 v0, 4, v0
	;; [unrolled: 5-line block ×3, first 2 shown]
	ds_write_b128 v0, v[56:59]
	buffer_store_dword v0, off, s[28:31], 0 offset:224 ; 4-byte Folded Spill
	ds_write_b128 v0, v[76:79] offset:32
	s_waitcnt vmcnt(0) lgkmcnt(0)
	s_barrier
	ds_read_b128 v[64:67], v16
	ds_read_b128 v[60:63], v16 offset:2016
	ds_read_b128 v[120:123], v16 offset:9408
	;; [unrolled: 1-line block ×11, first 2 shown]
	s_movk_i32 s0, 0x54
	v_cmp_gt_u16_e32 vcc, s0, v17
	s_and_saveexec_b64 s[0:1], vcc
	s_cbranch_execz .LBB0_3
; %bb.2:
	ds_read_b128 v[56:59], v16 offset:8064
	ds_read_b128 v[76:79], v16 offset:17472
	;; [unrolled: 1-line block ×3, first 2 shown]
.LBB0_3:
	s_or_b64 exec, exec, s[0:1]
	v_and_b32_e32 v28, 3, v17
	v_lshlrev_b32_e32 v0, 5, v28
	v_and_b32_e32 v15, 3, v9
	global_load_dwordx4 v[84:87], v0, s[14:15] offset:32
	global_load_dwordx4 v[96:99], v0, s[14:15] offset:48
	v_lshlrev_b32_e32 v0, 5, v15
	global_load_dwordx4 v[108:111], v0, s[14:15] offset:32
	global_load_dwordx4 v[112:115], v0, s[14:15] offset:48
	;; [unrolled: 1-line block ×3, first 2 shown]
	global_load_dwordx2 v[29:30], v0, s[14:15] offset:56
	v_and_b32_e32 v27, 3, v18
	v_lshlrev_b32_e32 v0, 5, v27
	global_load_dwordx2 v[31:32], v0, s[14:15] offset:32
	s_mov_b32 s0, 0xe8584caa
	s_mov_b32 s1, 0x3febb67a
	s_mov_b32 s5, 0xbfebb67a
	s_mov_b32 s4, s0
	s_waitcnt vmcnt(4) lgkmcnt(8)
	v_mul_f64 v[11:12], v[82:83], v[110:111]
	v_mul_f64 v[0:1], v[122:123], v[86:87]
	s_waitcnt lgkmcnt(7)
	v_mul_f64 v[4:5], v[126:127], v[98:99]
	s_waitcnt vmcnt(1) lgkmcnt(0)
	v_mul_f64 v[148:149], v[102:103], v[29:30]
	buffer_store_dword v29, off, s[28:31], 0 offset:228 ; 4-byte Folded Spill
	s_nop 0
	buffer_store_dword v30, off, s[28:31], 0 offset:232 ; 4-byte Folded Spill
	v_mul_f64 v[19:20], v[90:91], v[114:115]
	v_mul_f64 v[2:3], v[120:121], v[86:87]
	;; [unrolled: 1-line block ×3, first 2 shown]
	s_waitcnt vmcnt(2)
	v_fma_f64 v[11:12], v[80:81], v[31:32], -v[11:12]
	buffer_store_dword v31, off, s[28:31], 0 offset:264 ; 4-byte Folded Spill
	s_nop 0
	buffer_store_dword v32, off, s[28:31], 0 offset:268 ; 4-byte Folded Spill
	v_mul_f64 v[13:14], v[80:81], v[110:111]
	v_mul_f64 v[21:22], v[88:89], v[114:115]
	;; [unrolled: 1-line block ×9, first 2 shown]
	v_fma_f64 v[0:1], v[120:121], v[84:85], -v[0:1]
	v_fma_f64 v[4:5], v[124:125], v[96:97], -v[4:5]
	v_fma_f64 v[19:20], v[88:89], v[118:119], -v[19:20]
	v_mul_f64 v[25:26], v[128:129], v[86:87]
	v_fma_f64 v[2:3], v[122:123], v[84:85], v[2:3]
	v_fma_f64 v[6:7], v[126:127], v[96:97], v[6:7]
	v_mul_f64 v[156:157], v[138:139], v[98:99]
	v_mul_f64 v[158:159], v[136:137], v[98:99]
	v_fma_f64 v[21:22], v[90:91], v[118:119], v[21:22]
	v_fma_f64 v[23:24], v[128:129], v[84:85], -v[23:24]
	v_fma_f64 v[80:81], v[132:133], v[96:97], -v[140:141]
	;; [unrolled: 1-line block ×3, first 2 shown]
	v_fma_f64 v[90:91], v[94:95], v[108:109], v[146:147]
	v_fma_f64 v[92:93], v[100:101], v[112:113], -v[148:149]
	v_add_f64 v[132:133], v[60:61], v[11:12]
	v_fma_f64 v[25:26], v[130:131], v[84:85], v[25:26]
	v_add_f64 v[128:129], v[2:3], v[6:7]
	v_fma_f64 v[120:121], v[136:137], v[96:97], -v[156:157]
	v_fma_f64 v[122:123], v[138:139], v[96:97], v[158:159]
	v_add_f64 v[124:125], v[2:3], -v[6:7]
	v_add_f64 v[126:127], v[66:67], v[2:3]
	v_add_f64 v[130:131], v[0:1], -v[4:5]
	v_add_f64 v[140:141], v[11:12], -v[19:20]
	v_add_f64 v[148:149], v[72:73], v[88:89]
	v_add_f64 v[146:147], v[70:71], v[25:26]
	v_add_f64 v[156:157], v[88:89], -v[92:93]
	s_waitcnt vmcnt(0)
	s_barrier
	v_add_f64 v[2:3], v[126:127], v[6:7]
	v_mul_f64 v[150:151], v[100:101], v[29:30]
	v_fma_f64 v[100:101], v[76:77], v[84:85], -v[152:153]
	v_add_f64 v[76:77], v[64:65], v[0:1]
	v_fma_f64 v[13:14], v[82:83], v[31:32], v[13:14]
	v_fma_f64 v[82:83], v[134:135], v[96:97], v[142:143]
	v_add_f64 v[134:135], v[11:12], v[19:20]
	v_fma_f64 v[94:95], v[102:103], v[112:113], v[150:151]
	v_fma_f64 v[102:103], v[78:79], v[84:85], v[154:155]
	v_add_f64 v[78:79], v[0:1], v[4:5]
	v_add_f64 v[142:143], v[23:24], v[80:81]
	;; [unrolled: 1-line block ×3, first 2 shown]
	v_add_f64 v[136:137], v[13:14], -v[21:22]
	v_add_f64 v[138:139], v[62:63], v[13:14]
	v_add_f64 v[13:14], v[13:14], v[21:22]
	;; [unrolled: 1-line block ×4, first 2 shown]
	v_fma_f64 v[76:77], v[78:79], -0.5, v[64:65]
	v_fma_f64 v[19:20], v[134:135], -0.5, v[60:61]
	v_add_f64 v[144:145], v[25:26], -v[82:83]
	v_add_f64 v[25:26], v[25:26], v[82:83]
	v_fma_f64 v[78:79], v[128:129], -0.5, v[66:67]
	v_add_f64 v[11:12], v[68:69], v[23:24]
	v_add_f64 v[152:153], v[90:91], -v[94:95]
	v_add_f64 v[154:155], v[74:75], v[90:91]
	v_add_f64 v[90:91], v[90:91], v[94:95]
	;; [unrolled: 1-line block ×3, first 2 shown]
	v_fma_f64 v[21:22], v[13:14], -0.5, v[62:63]
	v_fma_f64 v[62:63], v[142:143], -0.5, v[68:69]
	v_add_f64 v[60:61], v[148:149], v[92:93]
	v_fma_f64 v[92:93], v[150:151], -0.5, v[72:73]
	v_fma_f64 v[64:65], v[124:125], s[0:1], v[76:77]
	v_fma_f64 v[68:69], v[124:125], s[4:5], v[76:77]
	;; [unrolled: 1-line block ×4, first 2 shown]
	v_add_f64 v[19:20], v[58:59], v[102:103]
	v_add_f64 v[23:24], v[23:24], -v[80:81]
	v_add_f64 v[88:89], v[100:101], v[120:121]
	v_add_f64 v[162:163], v[102:103], v[122:123]
	v_fma_f64 v[25:26], v[25:26], -0.5, v[70:71]
	v_fma_f64 v[66:67], v[130:131], s[4:5], v[78:79]
	v_add_f64 v[160:161], v[102:103], -v[122:123]
	v_fma_f64 v[126:127], v[90:91], -0.5, v[74:75]
	v_fma_f64 v[70:71], v[130:131], s[0:1], v[78:79]
	v_fma_f64 v[78:79], v[140:141], s[0:1], v[21:22]
	v_add_f64 v[122:123], v[19:20], v[122:123]
	v_lshrrev_b32_e32 v19, 2, v17
	v_add_f64 v[158:159], v[56:57], v[100:101]
	v_add_f64 v[13:14], v[146:147], v[82:83]
	v_fma_f64 v[128:129], v[88:89], -0.5, v[56:57]
	v_fma_f64 v[74:75], v[140:141], s[4:5], v[21:22]
	v_fma_f64 v[82:83], v[23:24], s[4:5], v[25:26]
	;; [unrolled: 1-line block ×3, first 2 shown]
	v_fma_f64 v[21:22], v[162:163], -0.5, v[58:59]
	v_add_f64 v[23:24], v[100:101], -v[120:121]
	v_mul_u32_u24_e32 v19, 12, v19
	v_or_b32_e32 v19, v19, v28
	v_lshlrev_b32_e32 v19, 4, v19
	v_add_f64 v[11:12], v[11:12], v[80:81]
	v_fma_f64 v[88:89], v[144:145], s[4:5], v[62:63]
	ds_write_b128 v19, v[0:3]
	ds_write_b128 v19, v[64:67] offset:64
	v_lshrrev_b32_e32 v0, 2, v18
	v_fma_f64 v[80:81], v[144:145], s[0:1], v[62:63]
	v_mul_u32_u24_e32 v0, 12, v0
	v_or_b32_e32 v0, v0, v27
	v_lshlrev_b32_e32 v0, 4, v0
	v_fma_f64 v[56:57], v[152:153], s[0:1], v[92:93]
	v_fma_f64 v[92:93], v[152:153], s[4:5], v[92:93]
	v_add_f64 v[62:63], v[154:155], v[94:95]
	v_fma_f64 v[94:95], v[156:157], s[0:1], v[126:127]
	buffer_store_dword v19, off, s[28:31], 0 offset:184 ; 4-byte Folded Spill
	ds_write_b128 v19, v[68:71] offset:128
	ds_write_b128 v0, v[4:7]
	ds_write_b128 v0, v[72:75] offset:64
	buffer_store_dword v0, off, s[28:31], 0 offset:188 ; 4-byte Folded Spill
	ds_write_b128 v0, v[76:79] offset:128
	v_lshrrev_b32_e32 v0, 2, v10
	v_fma_f64 v[58:59], v[156:157], s[4:5], v[126:127]
	v_add_f64 v[120:121], v[158:159], v[120:121]
	v_fma_f64 v[140:141], v[160:161], s[0:1], v[128:129]
	v_fma_f64 v[144:145], v[160:161], s[4:5], v[128:129]
	;; [unrolled: 1-line block ×4, first 2 shown]
	v_mul_u32_u24_e32 v0, 12, v0
	v_or_b32_e32 v0, v0, v28
	v_lshlrev_b32_e32 v0, 4, v0
	ds_write_b128 v0, v[11:14]
	ds_write_b128 v0, v[80:83] offset:64
	buffer_store_dword v0, off, s[28:31], 0 offset:192 ; 4-byte Folded Spill
	ds_write_b128 v0, v[88:91] offset:128
	v_lshrrev_b32_e32 v0, 2, v9
	v_mul_u32_u24_e32 v0, 12, v0
	v_or_b32_e32 v0, v0, v15
	v_lshlrev_b32_e32 v0, 4, v0
	ds_write_b128 v0, v[60:63]
	ds_write_b128 v0, v[56:59] offset:64
	buffer_store_dword v0, off, s[28:31], 0 offset:196 ; 4-byte Folded Spill
	ds_write_b128 v0, v[92:95] offset:128
	v_lshrrev_b32_e32 v0, 2, v8
	buffer_store_dword v0, off, s[28:31], 0 offset:288 ; 4-byte Folded Spill
	s_and_saveexec_b64 s[0:1], vcc
	s_cbranch_execz .LBB0_5
; %bb.4:
	v_lshrrev_b32_e32 v0, 2, v8
	v_mul_u32_u24_e32 v0, 12, v0
	v_and_b32_e32 v1, 3, v17
	v_or_b32_e32 v0, v0, v1
	v_lshlrev_b32_e32 v0, 4, v0
	ds_write_b128 v0, v[120:123]
	ds_write_b128 v0, v[140:143] offset:64
	ds_write_b128 v0, v[144:147] offset:128
.LBB0_5:
	s_or_b64 exec, exec, s[0:1]
	s_waitcnt vmcnt(0) lgkmcnt(0)
	s_barrier
	ds_read_b128 v[136:139], v16
	ds_read_b128 v[132:135], v16 offset:2016
	ds_read_b128 v[4:7], v16 offset:9408
	;; [unrolled: 1-line block ×11, first 2 shown]
	s_and_saveexec_b64 s[0:1], vcc
	s_cbranch_execz .LBB0_7
; %bb.6:
	ds_read_b128 v[120:123], v16 offset:8064
	ds_read_b128 v[140:143], v16 offset:17472
	;; [unrolled: 1-line block ×3, first 2 shown]
.LBB0_7:
	s_or_b64 exec, exec, s[0:1]
	s_movk_i32 s0, 0xab
	v_mul_lo_u16_sdwa v11, v17, s0 dst_sel:DWORD dst_unused:UNUSED_PAD src0_sel:BYTE_0 src1_sel:DWORD
	v_lshrrev_b16_e32 v19, 11, v11
	v_mul_lo_u16_e32 v11, 12, v19
	v_sub_u16_e32 v11, v17, v11
	v_and_b32_e32 v148, 0xff, v11
	v_lshlrev_b32_e32 v11, 5, v148
	global_load_dwordx4 v[64:67], v11, s[14:15] offset:176
	global_load_dwordx4 v[68:71], v11, s[14:15] offset:160
	s_mov_b32 s4, 0xaaab
	v_mul_u32_u24_e32 v19, 36, v19
	v_add_lshl_u32 v19, v19, v148, 4
	s_waitcnt vmcnt(0) lgkmcnt(9)
	v_mul_f64 v[11:12], v[6:7], v[70:71]
	v_fma_f64 v[11:12], v[4:5], v[68:69], -v[11:12]
	v_mul_f64 v[4:5], v[4:5], v[70:71]
	v_fma_f64 v[13:14], v[6:7], v[68:69], v[4:5]
	s_waitcnt lgkmcnt(7)
	v_mul_f64 v[4:5], v[2:3], v[66:67]
	v_fma_f64 v[20:21], v[0:1], v[64:65], -v[4:5]
	v_mul_f64 v[0:1], v[0:1], v[66:67]
	v_fma_f64 v[22:23], v[2:3], v[64:65], v[0:1]
	v_mul_lo_u16_sdwa v0, v18, s0 dst_sel:DWORD dst_unused:UNUSED_PAD src0_sel:BYTE_0 src1_sel:DWORD
	v_lshrrev_b16_e32 v149, 11, v0
	v_mul_lo_u16_e32 v0, 12, v149
	v_sub_u16_e32 v0, v18, v0
	v_and_b32_e32 v150, 0xff, v0
	v_lshlrev_b32_e32 v0, 5, v150
	global_load_dwordx4 v[72:75], v0, s[14:15] offset:176
	global_load_dwordx4 v[76:79], v0, s[14:15] offset:160
	v_mov_b32_e32 v2, s15
	s_waitcnt vmcnt(0)
	v_mul_f64 v[0:1], v[90:91], v[78:79]
	v_fma_f64 v[24:25], v[88:89], v[76:77], -v[0:1]
	v_mul_f64 v[0:1], v[88:89], v[78:79]
	v_fma_f64 v[26:27], v[90:91], v[76:77], v[0:1]
	s_waitcnt lgkmcnt(6)
	v_mul_f64 v[0:1], v[82:83], v[74:75]
	v_fma_f64 v[161:162], v[80:81], v[72:73], -v[0:1]
	v_mul_f64 v[0:1], v[80:81], v[74:75]
	v_fma_f64 v[163:164], v[82:83], v[72:73], v[0:1]
	v_mul_u32_u24_sdwa v0, v10, s4 dst_sel:DWORD dst_unused:UNUSED_PAD src0_sel:WORD_0 src1_sel:DWORD
	v_lshrrev_b32_e32 v151, 19, v0
	v_mul_lo_u16_e32 v0, 12, v151
	v_sub_u16_e32 v152, v10, v0
	v_lshlrev_b16_e32 v0, 5, v152
	v_add_co_u32_e64 v0, s[0:1], s14, v0
	v_addc_co_u32_e64 v1, s[0:1], 0, v2, s[0:1]
	global_load_dwordx4 v[80:83], v[0:1], off offset:176
	global_load_dwordx4 v[88:91], v[0:1], off offset:160
	s_waitcnt vmcnt(0) lgkmcnt(3)
	v_mul_f64 v[0:1], v[102:103], v[90:91]
	v_fma_f64 v[169:170], v[100:101], v[88:89], -v[0:1]
	v_mul_f64 v[0:1], v[100:101], v[90:91]
	v_fma_f64 v[171:172], v[102:103], v[88:89], v[0:1]
	s_waitcnt lgkmcnt(1)
	v_mul_f64 v[0:1], v[94:95], v[82:83]
	v_fma_f64 v[173:174], v[92:93], v[80:81], -v[0:1]
	v_mul_f64 v[0:1], v[92:93], v[82:83]
	v_fma_f64 v[175:176], v[94:95], v[80:81], v[0:1]
	v_mul_u32_u24_sdwa v0, v9, s4 dst_sel:DWORD dst_unused:UNUSED_PAD src0_sel:WORD_0 src1_sel:DWORD
	v_lshrrev_b32_e32 v153, 19, v0
	v_mul_lo_u16_e32 v0, 12, v153
	v_sub_u16_e32 v154, v9, v0
	v_lshlrev_b16_e32 v0, 5, v154
	v_add_co_u32_e64 v0, s[0:1], s14, v0
	v_addc_co_u32_e64 v1, s[0:1], 0, v2, s[0:1]
	global_load_dwordx4 v[92:95], v[0:1], off offset:176
	global_load_dwordx4 v[100:103], v[0:1], off offset:160
	s_waitcnt vmcnt(0)
	v_mul_f64 v[0:1], v[62:63], v[102:103]
	v_fma_f64 v[9:10], v[60:61], v[100:101], -v[0:1]
	v_mul_f64 v[0:1], v[60:61], v[102:103]
	v_fma_f64 v[177:178], v[62:63], v[100:101], v[0:1]
	s_waitcnt lgkmcnt(0)
	v_mul_f64 v[0:1], v[58:59], v[94:95]
	v_fma_f64 v[179:180], v[56:57], v[92:93], -v[0:1]
	v_mul_f64 v[0:1], v[56:57], v[94:95]
	v_fma_f64 v[181:182], v[58:59], v[92:93], v[0:1]
	v_mul_u32_u24_sdwa v0, v8, s4 dst_sel:DWORD dst_unused:UNUSED_PAD src0_sel:WORD_0 src1_sel:DWORD
	v_lshrrev_b32_e32 v28, 19, v0
	v_mul_lo_u16_e32 v0, 12, v28
	v_sub_u16_e32 v29, v8, v0
	v_lshlrev_b16_e32 v0, 5, v29
	v_add_co_u32_e64 v0, s[0:1], s14, v0
	v_addc_co_u32_e64 v1, s[0:1], 0, v2, s[0:1]
	global_load_dwordx4 v[56:59], v[0:1], off offset:176
	global_load_dwordx4 v[60:63], v[0:1], off offset:160
	s_mov_b32 s0, 0xe8584caa
	s_mov_b32 s1, 0x3febb67a
	s_mov_b32 s4, s0
	s_waitcnt vmcnt(0)
	s_barrier
	v_mul_f64 v[4:5], v[144:145], v[58:59]
	v_mul_f64 v[2:3], v[140:141], v[62:63]
	;; [unrolled: 1-line block ×3, first 2 shown]
	v_fma_f64 v[4:5], v[146:147], v[56:57], v[4:5]
	v_fma_f64 v[6:7], v[142:143], v[60:61], v[2:3]
	v_mul_f64 v[2:3], v[146:147], v[58:59]
	v_add_f64 v[142:143], v[11:12], v[20:21]
	v_fma_f64 v[0:1], v[140:141], v[60:61], -v[0:1]
	v_add_f64 v[140:141], v[136:137], v[11:12]
	v_add_f64 v[11:12], v[11:12], -v[20:21]
	v_fma_f64 v[2:3], v[144:145], v[56:57], -v[2:3]
	v_fma_f64 v[142:143], v[142:143], -0.5, v[136:137]
	v_add_f64 v[144:145], v[13:14], -v[22:23]
	v_add_f64 v[140:141], v[140:141], v[20:21]
	v_fma_f64 v[136:137], v[144:145], s[0:1], v[142:143]
	v_fma_f64 v[144:145], v[144:145], s[4:5], v[142:143]
	v_add_f64 v[142:143], v[138:139], v[13:14]
	v_add_f64 v[13:14], v[13:14], v[22:23]
	;; [unrolled: 1-line block ×3, first 2 shown]
	v_fma_f64 v[13:14], v[13:14], -0.5, v[138:139]
	v_fma_f64 v[138:139], v[11:12], s[4:5], v[13:14]
	v_fma_f64 v[146:147], v[11:12], s[0:1], v[13:14]
	v_add_f64 v[11:12], v[132:133], v[24:25]
	v_add_f64 v[13:14], v[26:27], -v[163:164]
	ds_write_b128 v19, v[140:143]
	ds_write_b128 v19, v[136:139] offset:192
	buffer_store_dword v19, off, s[28:31], 0 offset:272 ; 4-byte Folded Spill
	ds_write_b128 v19, v[144:147] offset:384
	v_add_f64 v[155:156], v[11:12], v[161:162]
	v_add_f64 v[11:12], v[24:25], v[161:162]
	v_mul_u32_u24_e32 v19, 36, v149
	v_add_lshl_u32 v19, v19, v150, 4
	v_fma_f64 v[11:12], v[11:12], -0.5, v[132:133]
	v_fma_f64 v[132:133], v[13:14], s[0:1], v[11:12]
	v_fma_f64 v[159:160], v[13:14], s[4:5], v[11:12]
	v_add_f64 v[11:12], v[134:135], v[26:27]
	v_add_f64 v[13:14], v[24:25], -v[161:162]
	v_add_f64 v[157:158], v[11:12], v[163:164]
	v_add_f64 v[11:12], v[26:27], v[163:164]
	v_fma_f64 v[11:12], v[11:12], -0.5, v[134:135]
	v_fma_f64 v[134:135], v[13:14], s[4:5], v[11:12]
	v_fma_f64 v[161:162], v[13:14], s[0:1], v[11:12]
	v_add_f64 v[11:12], v[128:129], v[169:170]
	v_add_f64 v[13:14], v[171:172], -v[175:176]
	ds_write_b128 v19, v[155:158]
	ds_write_b128 v19, v[132:135] offset:192
	buffer_store_dword v19, off, s[28:31], 0 offset:276 ; 4-byte Folded Spill
	ds_write_b128 v19, v[159:162] offset:384
	v_add_f64 v[163:164], v[11:12], v[173:174]
	v_add_f64 v[11:12], v[169:170], v[173:174]
	v_mad_legacy_u16 v19, v151, 36, v152
	v_lshlrev_b32_e32 v19, 4, v19
	v_fma_f64 v[11:12], v[11:12], -0.5, v[128:129]
	v_fma_f64 v[128:129], v[13:14], s[0:1], v[11:12]
	v_fma_f64 v[167:168], v[13:14], s[4:5], v[11:12]
	v_add_f64 v[11:12], v[130:131], v[171:172]
	v_add_f64 v[13:14], v[169:170], -v[173:174]
	v_add_f64 v[165:166], v[11:12], v[175:176]
	v_add_f64 v[11:12], v[171:172], v[175:176]
	v_fma_f64 v[11:12], v[11:12], -0.5, v[130:131]
	v_fma_f64 v[130:131], v[13:14], s[4:5], v[11:12]
	v_fma_f64 v[169:170], v[13:14], s[0:1], v[11:12]
	v_add_f64 v[11:12], v[124:125], v[9:10]
	v_add_f64 v[13:14], v[177:178], -v[181:182]
	ds_write_b128 v19, v[163:166]
	ds_write_b128 v19, v[128:131] offset:192
	buffer_store_dword v19, off, s[28:31], 0 offset:280 ; 4-byte Folded Spill
	ds_write_b128 v19, v[167:170] offset:384
	v_add_f64 v[171:172], v[11:12], v[179:180]
	v_add_f64 v[11:12], v[9:10], v[179:180]
	v_add_f64 v[8:9], v[9:10], -v[179:180]
	v_mad_legacy_u16 v19, v153, 36, v154
	v_lshlrev_b32_e32 v19, 4, v19
	v_fma_f64 v[11:12], v[11:12], -0.5, v[124:125]
	v_fma_f64 v[124:125], v[13:14], s[0:1], v[11:12]
	v_fma_f64 v[175:176], v[13:14], s[4:5], v[11:12]
	v_add_f64 v[11:12], v[126:127], v[177:178]
	v_add_f64 v[14:15], v[0:1], -v[2:3]
	v_add_f64 v[173:174], v[11:12], v[181:182]
	v_add_f64 v[11:12], v[177:178], v[181:182]
	v_fma_f64 v[11:12], v[11:12], -0.5, v[126:127]
	v_fma_f64 v[126:127], v[8:9], s[4:5], v[11:12]
	v_fma_f64 v[177:178], v[8:9], s[0:1], v[11:12]
	v_add_f64 v[8:9], v[0:1], v[2:3]
	v_add_f64 v[12:13], v[6:7], v[4:5]
	v_add_f64 v[10:11], v[6:7], -v[4:5]
	ds_write_b128 v19, v[171:174]
	ds_write_b128 v19, v[124:127] offset:192
	buffer_store_dword v19, off, s[28:31], 0 offset:284 ; 4-byte Folded Spill
	ds_write_b128 v19, v[175:178] offset:384
	v_fma_f64 v[8:9], v[8:9], -0.5, v[120:121]
	v_fma_f64 v[12:13], v[12:13], -0.5, v[122:123]
	v_mad_legacy_u16 v19, v28, 36, v29
	buffer_store_dword v19, off, s[28:31], 0 offset:260 ; 4-byte Folded Spill
	v_fma_f64 v[216:217], v[10:11], s[4:5], v[8:9]
	v_fma_f64 v[218:219], v[14:15], s[0:1], v[12:13]
	s_and_saveexec_b64 s[4:5], vcc
	s_cbranch_execz .LBB0_9
; %bb.8:
	v_add_f64 v[0:1], v[120:121], v[0:1]
	v_mul_f64 v[21:22], v[10:11], s[0:1]
	v_mul_f64 v[14:15], v[14:15], s[0:1]
	v_add_f64 v[19:20], v[122:123], v[6:7]
	v_add_f64 v[10:11], v[0:1], v[2:3]
	buffer_load_dword v0, off, s[28:31], 0 offset:260 ; 4-byte Folded Reload
	v_add_f64 v[6:7], v[12:13], -v[14:15]
	v_add_f64 v[12:13], v[19:20], v[4:5]
	v_add_f64 v[4:5], v[21:22], v[8:9]
	s_waitcnt vmcnt(0)
	v_lshlrev_b32_e32 v0, 4, v0
	ds_write_b128 v0, v[10:13]
	ds_write_b128 v0, v[4:7] offset:192
	ds_write_b128 v0, v[216:219] offset:384
.LBB0_9:
	s_or_b64 exec, exec, s[4:5]
	v_lshlrev_b32_e32 v0, 4, v17
	v_add_co_u32_e64 v250, s[0:1], s12, v0
	v_mov_b32_e32 v0, s13
	v_mov_b32_e32 v28, 57
	v_addc_co_u32_e64 v251, s[0:1], 0, v0, s[0:1]
	v_mul_lo_u16_sdwa v0, v17, v28 dst_sel:DWORD dst_unused:UNUSED_PAD src0_sel:BYTE_0 src1_sel:DWORD
	v_lshrrev_b16_e32 v19, 11, v0
	v_mul_lo_u16_e32 v0, 36, v19
	v_sub_u16_e32 v0, v17, v0
	v_and_b32_e32 v178, 0xff, v0
	v_mov_b32_e32 v0, s14
	s_movk_i32 s0, 0x60
	v_mov_b32_e32 v1, s15
	v_mad_u64_u32 v[14:15], s[4:5], v178, s0, v[0:1]
	s_waitcnt vmcnt(0) lgkmcnt(0)
	s_barrier
	ds_read_b128 v[172:175], v16
	ds_read_b128 v[2:5], v16 offset:4032
	ds_read_b128 v[6:9], v16 offset:8064
	;; [unrolled: 1-line block ×13, first 2 shown]
	global_load_dwordx4 v[120:123], v[14:15], off offset:592
	global_load_dwordx4 v[128:131], v[14:15], off offset:576
	;; [unrolled: 1-line block ×6, first 2 shown]
	s_mov_b32 s6, 0x36b3c0b5
	s_mov_b32 s14, 0xe976ee23
	;; [unrolled: 1-line block ×18, first 2 shown]
	s_waitcnt vmcnt(2) lgkmcnt(12)
	v_mul_f64 v[20:21], v[4:5], v[142:143]
	v_fma_f64 v[20:21], v[2:3], v[140:141], -v[20:21]
	v_mul_f64 v[2:3], v[2:3], v[142:143]
	v_fma_f64 v[22:23], v[4:5], v[140:141], v[2:3]
	s_waitcnt lgkmcnt(11)
	v_mul_f64 v[2:3], v[8:9], v[138:139]
	v_fma_f64 v[24:25], v[6:7], v[136:137], -v[2:3]
	v_mul_f64 v[2:3], v[6:7], v[138:139]
	v_fma_f64 v[26:27], v[8:9], v[136:137], v[2:3]
	s_waitcnt lgkmcnt(10)
	;; [unrolled: 5-line block ×3, first 2 shown]
	v_mul_f64 v[2:3], v[126:127], v[122:123]
	v_fma_f64 v[204:205], v[124:125], v[120:121], -v[2:3]
	v_mul_f64 v[2:3], v[124:125], v[122:123]
	v_fma_f64 v[206:207], v[126:127], v[120:121], v[2:3]
	s_waitcnt vmcnt(0) lgkmcnt(8)
	v_mul_f64 v[2:3], v[150:151], v[146:147]
	v_fma_f64 v[208:209], v[148:149], v[144:145], -v[2:3]
	v_mul_f64 v[2:3], v[148:149], v[146:147]
	v_fma_f64 v[210:211], v[150:151], v[144:145], v[2:3]
	s_waitcnt lgkmcnt(7)
	v_mul_f64 v[2:3], v[154:155], v[134:135]
	v_fma_f64 v[212:213], v[152:153], v[132:133], -v[2:3]
	v_mul_f64 v[2:3], v[152:153], v[134:135]
	v_fma_f64 v[214:215], v[154:155], v[132:133], v[2:3]
	v_mul_lo_u16_sdwa v2, v18, v28 dst_sel:DWORD dst_unused:UNUSED_PAD src0_sel:BYTE_0 src1_sel:DWORD
	v_lshrrev_b16_e32 v179, 11, v2
	v_mul_lo_u16_e32 v2, 36, v179
	v_sub_u16_e32 v2, v18, v2
	v_and_b32_e32 v18, 0xff, v2
	v_mad_u64_u32 v[220:221], s[4:5], v18, s0, v[0:1]
	global_load_dwordx4 v[148:151], v[220:221], off offset:592
	global_load_dwordx4 v[152:155], v[220:221], off offset:576
	;; [unrolled: 1-line block ×4, first 2 shown]
	s_mov_b32 s4, 0x37e14327
	s_mov_b32 s5, 0x3fe948f6
	v_mad_u64_u32 v[0:1], s[0:1], v17, s0, v[0:1]
	s_movk_i32 s0, 0x2f40
	s_waitcnt vmcnt(3) lgkmcnt(2)
	v_mul_f64 v[124:125], v[188:189], v[150:151]
	s_waitcnt vmcnt(2)
	v_mul_f64 v[12:13], v[184:185], v[154:155]
	s_waitcnt vmcnt(1)
	;; [unrolled: 2-line block ×3, first 2 shown]
	v_mul_f64 v[2:3], v[166:167], v[162:163]
	v_mul_f64 v[4:5], v[164:165], v[162:163]
	;; [unrolled: 1-line block ×3, first 2 shown]
	v_fma_f64 v[176:177], v[190:191], v[148:149], v[124:125]
	v_fma_f64 v[12:13], v[186:187], v[152:153], v[12:13]
	;; [unrolled: 1-line block ×3, first 2 shown]
	v_fma_f64 v[2:3], v[164:165], v[160:161], -v[2:3]
	v_fma_f64 v[8:9], v[166:167], v[160:161], v[4:5]
	global_load_dwordx4 v[124:127], v[220:221], off offset:624
	global_load_dwordx4 v[164:167], v[220:221], off offset:608
	v_mul_f64 v[4:5], v[182:183], v[158:159]
	v_mul_f64 v[6:7], v[186:187], v[154:155]
	v_add_f64 v[182:183], v[22:23], v[214:215]
	v_add_f64 v[186:187], v[26:27], v[210:211]
	v_fma_f64 v[14:15], v[188:189], v[148:149], -v[14:15]
	v_add_f64 v[22:23], v[22:23], -v[214:215]
	v_add_f64 v[26:27], v[26:27], -v[210:211]
	v_add_f64 v[188:189], v[200:201], v[204:205]
	v_fma_f64 v[4:5], v[180:181], v[156:157], -v[4:5]
	v_fma_f64 v[6:7], v[184:185], v[152:153], -v[6:7]
	v_add_f64 v[184:185], v[24:25], v[208:209]
	v_add_f64 v[24:25], v[24:25], -v[208:209]
	v_add_f64 v[190:191], v[202:203], v[206:207]
	s_waitcnt vmcnt(0) lgkmcnt(0)
	s_barrier
	v_mul_f64 v[180:181], v[194:195], v[166:167]
	v_fma_f64 v[220:221], v[192:193], v[164:165], -v[180:181]
	v_mul_f64 v[180:181], v[192:193], v[166:167]
	v_add_f64 v[192:193], v[204:205], -v[200:201]
	v_fma_f64 v[222:223], v[194:195], v[164:165], v[180:181]
	v_mul_f64 v[180:181], v[198:199], v[126:127]
	v_add_f64 v[194:195], v[206:207], -v[202:203]
	v_add_f64 v[202:203], v[186:187], -v[182:183]
	v_add_f64 v[204:205], v[192:193], v[24:25]
	v_add_f64 v[208:209], v[192:193], -v[24:25]
	v_fma_f64 v[224:225], v[196:197], v[124:125], -v[180:181]
	v_mul_f64 v[180:181], v[196:197], v[126:127]
	v_add_f64 v[206:207], v[194:195], v[26:27]
	v_add_f64 v[210:211], v[194:195], -v[26:27]
	v_add_f64 v[26:27], v[26:27], -v[22:23]
	;; [unrolled: 1-line block ×3, first 2 shown]
	v_fma_f64 v[226:227], v[198:199], v[124:125], v[180:181]
	v_add_f64 v[180:181], v[20:21], v[212:213]
	v_add_f64 v[20:21], v[20:21], -v[212:213]
	v_add_f64 v[198:199], v[186:187], v[182:183]
	v_add_f64 v[182:183], v[182:183], -v[190:191]
	v_add_f64 v[186:187], v[190:191], -v[186:187]
	v_add_f64 v[22:23], v[206:207], v[22:23]
	v_mul_f64 v[206:207], v[210:211], s[14:15]
	v_mul_f64 v[210:211], v[26:27], s[12:13]
	v_add_f64 v[196:197], v[184:185], v[180:181]
	v_add_f64 v[200:201], v[184:185], -v[180:181]
	v_add_f64 v[180:181], v[180:181], -v[188:189]
	;; [unrolled: 1-line block ×4, first 2 shown]
	v_add_f64 v[190:191], v[190:191], v[198:199]
	v_add_f64 v[192:193], v[20:21], -v[192:193]
	v_add_f64 v[20:21], v[204:205], v[20:21]
	v_add_f64 v[188:189], v[188:189], v[196:197]
	v_mul_f64 v[182:183], v[182:183], s[4:5]
	v_mul_f64 v[180:181], v[180:181], s[4:5]
	;; [unrolled: 1-line block ×4, first 2 shown]
	v_add_f64 v[174:175], v[174:175], v[190:191]
	v_mul_f64 v[204:205], v[208:209], s[14:15]
	v_mul_f64 v[208:209], v[24:25], s[12:13]
	v_add_f64 v[172:173], v[172:173], v[188:189]
	v_fma_f64 v[186:187], v[186:187], s[6:7], v[182:183]
	v_fma_f64 v[184:185], v[184:185], s[6:7], v[180:181]
	v_fma_f64 v[196:197], v[200:201], s[18:19], -v[196:197]
	v_fma_f64 v[198:199], v[202:203], s[18:19], -v[198:199]
	v_fma_f64 v[190:191], v[190:191], s[16:17], v[174:175]
	v_fma_f64 v[180:181], v[200:201], s[22:23], -v[180:181]
	v_fma_f64 v[182:183], v[202:203], s[22:23], -v[182:183]
	v_fma_f64 v[188:189], v[188:189], s[16:17], v[172:173]
	v_fma_f64 v[200:201], v[192:193], s[24:25], v[204:205]
	;; [unrolled: 1-line block ×3, first 2 shown]
	v_fma_f64 v[24:25], v[24:25], s[12:13], -v[204:205]
	v_fma_f64 v[26:27], v[26:27], s[12:13], -v[206:207]
	;; [unrolled: 1-line block ×4, first 2 shown]
	v_add_f64 v[198:199], v[198:199], v[190:191]
	v_add_f64 v[196:197], v[196:197], v[188:189]
	;; [unrolled: 1-line block ×4, first 2 shown]
	v_fma_f64 v[212:213], v[20:21], s[20:21], v[200:201]
	v_fma_f64 v[200:201], v[22:23], s[20:21], v[202:203]
	;; [unrolled: 1-line block ×6, first 2 shown]
	v_add_f64 v[204:205], v[184:185], v[188:189]
	v_add_f64 v[206:207], v[186:187], v[190:191]
	;; [unrolled: 1-line block ×3, first 2 shown]
	v_add_f64 v[188:189], v[196:197], -v[26:27]
	v_add_f64 v[186:187], v[210:211], -v[20:21]
	v_add_f64 v[184:185], v[22:23], v[208:209]
	v_add_f64 v[192:193], v[26:27], v[196:197]
	v_add_f64 v[194:195], v[198:199], -v[24:25]
	v_add_f64 v[196:197], v[208:209], -v[22:23]
	v_add_f64 v[198:199], v[20:21], v[210:211]
	v_add_f64 v[20:21], v[2:3], v[224:225]
	;; [unrolled: 1-line block ×6, first 2 shown]
	v_add_f64 v[182:183], v[206:207], -v[212:213]
	v_add_f64 v[200:201], v[204:205], -v[200:201]
	v_add_f64 v[202:203], v[212:213], v[206:207]
	v_add_f64 v[4:5], v[4:5], -v[220:221]
	v_add_f64 v[10:11], v[10:11], -v[222:223]
	v_add_f64 v[204:205], v[6:7], v[14:15]
	v_add_f64 v[206:207], v[12:13], v[176:177]
	v_add_f64 v[6:7], v[14:15], -v[6:7]
	v_add_f64 v[12:13], v[176:177], -v[12:13]
	v_add_f64 v[14:15], v[24:25], v[20:21]
	v_add_f64 v[176:177], v[26:27], v[22:23]
	v_add_f64 v[2:3], v[2:3], -v[224:225]
	v_add_f64 v[8:9], v[8:9], -v[226:227]
	;; [unrolled: 1-line block ×8, first 2 shown]
	v_add_f64 v[212:213], v[6:7], v[4:5]
	v_add_f64 v[220:221], v[6:7], -v[4:5]
	v_add_f64 v[222:223], v[12:13], -v[10:11]
	v_add_f64 v[14:15], v[204:205], v[14:15]
	v_add_f64 v[176:177], v[206:207], v[176:177]
	;; [unrolled: 1-line block ×3, first 2 shown]
	v_add_f64 v[224:225], v[4:5], -v[2:3]
	v_add_f64 v[10:11], v[10:11], -v[8:9]
	;; [unrolled: 1-line block ×4, first 2 shown]
	v_add_f64 v[204:205], v[212:213], v[2:3]
	v_add_f64 v[2:3], v[168:169], v[14:15]
	;; [unrolled: 1-line block ×3, first 2 shown]
	v_mul_f64 v[20:21], v[20:21], s[4:5]
	v_mul_f64 v[22:23], v[22:23], s[4:5]
	;; [unrolled: 1-line block ×6, first 2 shown]
	v_add_f64 v[8:9], v[214:215], v[8:9]
	v_mul_f64 v[214:215], v[224:225], s[12:13]
	v_mul_f64 v[220:221], v[10:11], s[12:13]
	v_fma_f64 v[14:15], v[14:15], s[16:17], v[2:3]
	v_fma_f64 v[176:177], v[176:177], s[16:17], v[4:5]
	;; [unrolled: 1-line block ×4, first 2 shown]
	v_fma_f64 v[168:169], v[208:209], s[18:19], -v[168:169]
	v_fma_f64 v[170:171], v[210:211], s[18:19], -v[170:171]
	;; [unrolled: 1-line block ×4, first 2 shown]
	v_fma_f64 v[208:209], v[6:7], s[24:25], v[206:207]
	v_fma_f64 v[210:211], v[12:13], s[24:25], v[212:213]
	v_fma_f64 v[6:7], v[6:7], s[26:27], -v[214:215]
	v_fma_f64 v[12:13], v[12:13], s[26:27], -v[220:221]
	;; [unrolled: 1-line block ×4, first 2 shown]
	v_add_f64 v[24:25], v[24:25], v[14:15]
	v_add_f64 v[26:27], v[26:27], v[176:177]
	;; [unrolled: 1-line block ×6, first 2 shown]
	v_fma_f64 v[22:23], v[204:205], s[20:21], v[208:209]
	v_fma_f64 v[176:177], v[8:9], s[20:21], v[210:211]
	;; [unrolled: 1-line block ×6, first 2 shown]
	v_add_f64 v[8:9], v[26:27], -v[22:23]
	v_add_f64 v[6:7], v[176:177], v[24:25]
	v_add_f64 v[12:13], v[20:21], -v[210:211]
	v_add_f64 v[10:11], v[220:221], v[14:15]
	v_add_f64 v[170:171], v[206:207], v[214:215]
	v_add_f64 v[168:169], v[212:213], -v[208:209]
	v_add_f64 v[204:205], v[208:209], v[212:213]
	v_add_f64 v[206:207], v[214:215], -v[206:207]
	v_add_f64 v[208:209], v[14:15], -v[220:221]
	v_add_f64 v[210:211], v[210:211], v[20:21]
	v_mul_u32_u24_e32 v14, 0xfc, v19
	v_add_f64 v[212:213], v[24:25], -v[176:177]
	v_add_f64 v[214:215], v[22:23], v[26:27]
	v_add_lshl_u32 v19, v14, v178, 4
	v_mul_u32_u24_e32 v14, 0xfc, v179
	v_add_lshl_u32 v18, v14, v18, 4
	ds_write_b128 v19, v[172:175]
	ds_write_b128 v19, v[180:183] offset:576
	ds_write_b128 v19, v[184:187] offset:1152
	ds_write_b128 v19, v[188:191] offset:1728
	ds_write_b128 v19, v[192:195] offset:2304
	ds_write_b128 v19, v[196:199] offset:2880
	ds_write_b128 v19, v[200:203] offset:3456
	ds_write_b128 v18, v[2:5]
	ds_write_b128 v18, v[6:9] offset:576
	ds_write_b128 v18, v[10:13] offset:1152
	;; [unrolled: 1-line block ×6, first 2 shown]
	s_waitcnt lgkmcnt(0)
	s_barrier
	ds_read_b128 v[224:227], v16
	ds_read_b128 v[2:5], v16 offset:4032
	ds_read_b128 v[6:9], v16 offset:8064
	;; [unrolled: 1-line block ×13, first 2 shown]
	global_load_dwordx4 v[168:171], v[0:1], off offset:4048
	global_load_dwordx4 v[172:175], v[0:1], off offset:4032
	global_load_dwordx4 v[176:179], v[0:1], off offset:4016
	global_load_dwordx4 v[180:183], v[0:1], off offset:4000
	global_load_dwordx4 v[188:191], v[0:1], off offset:4080
	global_load_dwordx4 v[192:195], v[0:1], off offset:4064
	v_add_co_u32_e64 v0, s[0:1], s0, v0
	v_addc_co_u32_e64 v1, s[0:1], 0, v1, s[0:1]
	s_movk_i32 s0, 0x6e40
	s_waitcnt vmcnt(5) lgkmcnt(9)
	v_mul_f64 v[20:21], v[184:185], v[170:171]
	s_waitcnt vmcnt(2)
	v_mul_f64 v[14:15], v[4:5], v[182:183]
	s_waitcnt vmcnt(0) lgkmcnt(8)
	v_mul_f64 v[22:23], v[198:199], v[194:195]
	v_mul_f64 v[24:25], v[196:197], v[194:195]
	s_waitcnt lgkmcnt(7)
	v_mul_f64 v[26:27], v[202:203], v[190:191]
	v_fma_f64 v[20:21], v[186:187], v[168:169], v[20:21]
	v_fma_f64 v[14:15], v[2:3], v[180:181], -v[14:15]
	v_mul_f64 v[2:3], v[2:3], v[182:183]
	v_fma_f64 v[22:23], v[196:197], v[192:193], -v[22:23]
	v_fma_f64 v[24:25], v[198:199], v[192:193], v[24:25]
	v_fma_f64 v[26:27], v[200:201], v[188:189], -v[26:27]
	v_fma_f64 v[2:3], v[4:5], v[180:181], v[2:3]
	v_mul_f64 v[4:5], v[8:9], v[178:179]
	v_fma_f64 v[4:5], v[6:7], v[176:177], -v[4:5]
	v_mul_f64 v[6:7], v[6:7], v[178:179]
	v_fma_f64 v[6:7], v[8:9], v[176:177], v[6:7]
	v_mul_f64 v[8:9], v[12:13], v[174:175]
	v_fma_f64 v[8:9], v[10:11], v[172:173], -v[8:9]
	v_mul_f64 v[10:11], v[10:11], v[174:175]
	;; [unrolled: 4-line block ×3, first 2 shown]
	v_fma_f64 v[244:245], v[202:203], v[188:189], v[184:185]
	global_load_dwordx4 v[196:199], v[0:1], off offset:4048
	global_load_dwordx4 v[200:203], v[0:1], off offset:4032
	;; [unrolled: 1-line block ×4, first 2 shown]
	s_waitcnt vmcnt(1) lgkmcnt(4)
	v_mul_f64 v[30:31], v[252:253], v[206:207]
	s_waitcnt vmcnt(0)
	v_mul_f64 v[184:185], v[214:215], v[210:211]
	v_fma_f64 v[30:31], v[254:255], v[204:205], v[30:31]
	v_fma_f64 v[246:247], v[212:213], v[208:209], -v[184:185]
	v_mul_f64 v[184:185], v[212:213], v[210:211]
	v_fma_f64 v[248:249], v[214:215], v[208:209], v[184:185]
	v_mul_f64 v[184:185], v[254:255], v[206:207]
	v_fma_f64 v[28:29], v[252:253], v[204:205], -v[184:185]
	s_waitcnt lgkmcnt(3)
	v_mul_f64 v[184:185], v[238:239], v[202:203]
	v_fma_f64 v[252:253], v[236:237], v[200:201], -v[184:185]
	v_mul_f64 v[184:185], v[236:237], v[202:203]
	v_fma_f64 v[236:237], v[238:239], v[200:201], v[184:185]
	s_waitcnt lgkmcnt(2)
	v_mul_f64 v[184:185], v[242:243], v[198:199]
	v_fma_f64 v[238:239], v[240:241], v[196:197], -v[184:185]
	v_mul_f64 v[184:185], v[240:241], v[198:199]
	v_fma_f64 v[240:241], v[242:243], v[196:197], v[184:185]
	global_load_dwordx4 v[184:187], v[0:1], off offset:4080
	global_load_dwordx4 v[212:215], v[0:1], off offset:4064
	s_waitcnt vmcnt(0) lgkmcnt(1)
	v_mul_f64 v[0:1], v[234:235], v[214:215]
	v_fma_f64 v[242:243], v[232:233], v[212:213], -v[0:1]
	v_mul_f64 v[0:1], v[232:233], v[214:215]
	v_fma_f64 v[254:255], v[234:235], v[212:213], v[0:1]
	s_waitcnt lgkmcnt(0)
	v_mul_f64 v[0:1], v[230:231], v[186:187]
	v_fma_f64 v[32:33], v[228:229], v[184:185], -v[0:1]
	v_mul_f64 v[0:1], v[228:229], v[186:187]
	v_add_f64 v[228:229], v[2:3], v[244:245]
	v_add_f64 v[2:3], v[2:3], -v[244:245]
	v_fma_f64 v[34:35], v[230:231], v[184:185], v[0:1]
	v_add_f64 v[0:1], v[14:15], v[26:27]
	v_add_f64 v[14:15], v[14:15], -v[26:27]
	v_add_f64 v[26:27], v[4:5], v[22:23]
	v_add_f64 v[230:231], v[6:7], v[24:25]
	v_add_f64 v[4:5], v[4:5], -v[22:23]
	v_add_f64 v[6:7], v[6:7], -v[24:25]
	v_add_f64 v[22:23], v[8:9], v[12:13]
	v_add_f64 v[24:25], v[10:11], v[20:21]
	v_add_f64 v[8:9], v[12:13], -v[8:9]
	;; [unrolled: 4-line block ×3, first 2 shown]
	v_add_f64 v[234:235], v[230:231], -v[228:229]
	v_add_f64 v[244:245], v[0:1], -v[22:23]
	v_add_f64 v[228:229], v[228:229], -v[24:25]
	v_add_f64 v[26:27], v[22:23], -v[26:27]
	v_add_f64 v[230:231], v[24:25], -v[230:231]
	v_add_f64 v[0:1], v[8:9], v[4:5]
	v_add_f64 v[36:37], v[10:11], v[6:7]
	v_add_f64 v[38:39], v[8:9], -v[4:5]
	v_add_f64 v[40:41], v[10:11], -v[6:7]
	;; [unrolled: 1-line block ×4, first 2 shown]
	v_add_f64 v[12:13], v[22:23], v[12:13]
	v_add_f64 v[20:21], v[24:25], v[20:21]
	v_add_f64 v[8:9], v[14:15], -v[8:9]
	v_add_f64 v[10:11], v[2:3], -v[10:11]
	v_add_f64 v[14:15], v[0:1], v[14:15]
	v_add_f64 v[22:23], v[36:37], v[2:3]
	v_mul_f64 v[24:25], v[244:245], s[4:5]
	v_mul_f64 v[36:37], v[228:229], s[4:5]
	v_add_f64 v[0:1], v[224:225], v[12:13]
	v_add_f64 v[2:3], v[226:227], v[20:21]
	v_mul_f64 v[42:43], v[26:27], s[6:7]
	v_mul_f64 v[224:225], v[230:231], s[6:7]
	;; [unrolled: 1-line block ×6, first 2 shown]
	v_fma_f64 v[12:13], v[12:13], s[16:17], v[0:1]
	v_fma_f64 v[20:21], v[20:21], s[16:17], v[2:3]
	v_fma_f64 v[26:27], v[26:27], s[6:7], v[24:25]
	v_fma_f64 v[230:231], v[230:231], s[6:7], v[36:37]
	v_fma_f64 v[42:43], v[232:233], s[18:19], -v[42:43]
	v_fma_f64 v[224:225], v[234:235], s[18:19], -v[224:225]
	;; [unrolled: 1-line block ×4, first 2 shown]
	v_fma_f64 v[232:233], v[8:9], s[24:25], v[38:39]
	v_fma_f64 v[234:235], v[10:11], s[24:25], v[40:41]
	v_fma_f64 v[6:7], v[6:7], s[12:13], -v[40:41]
	v_fma_f64 v[8:9], v[8:9], s[26:27], -v[226:227]
	;; [unrolled: 1-line block ×4, first 2 shown]
	v_add_f64 v[26:27], v[26:27], v[12:13]
	v_add_f64 v[38:39], v[230:231], v[20:21]
	;; [unrolled: 1-line block ×6, first 2 shown]
	v_fma_f64 v[36:37], v[14:15], s[20:21], v[232:233]
	v_fma_f64 v[232:233], v[22:23], s[20:21], v[234:235]
	;; [unrolled: 1-line block ×6, first 2 shown]
	v_add_f64 v[6:7], v[38:39], -v[36:37]
	v_add_f64 v[4:5], v[232:233], v[26:27]
	v_add_f64 v[232:233], v[26:27], -v[232:233]
	v_add_f64 v[10:11], v[20:21], -v[230:231]
	v_add_f64 v[8:9], v[22:23], v[24:25]
	v_add_f64 v[228:229], v[24:25], -v[22:23]
	v_add_f64 v[230:231], v[230:231], v[20:21]
	v_add_f64 v[20:21], v[246:247], v[32:33]
	;; [unrolled: 1-line block ×3, first 2 shown]
	v_add_f64 v[24:25], v[246:247], -v[32:33]
	v_add_f64 v[26:27], v[248:249], -v[34:35]
	v_add_f64 v[32:33], v[28:29], v[242:243]
	v_add_f64 v[34:35], v[30:31], v[254:255]
	v_add_f64 v[12:13], v[40:41], -v[224:225]
	v_add_f64 v[14:15], v[226:227], v[42:43]
	v_add_f64 v[224:225], v[224:225], v[40:41]
	v_add_f64 v[226:227], v[42:43], -v[226:227]
	v_add_f64 v[234:235], v[36:37], v[38:39]
	v_add_f64 v[28:29], v[28:29], -v[242:243]
	v_add_f64 v[30:31], v[30:31], -v[254:255]
	v_add_f64 v[36:37], v[252:253], v[238:239]
	v_add_f64 v[38:39], v[236:237], v[240:241]
	v_add_f64 v[40:41], v[238:239], -v[252:253]
	v_add_f64 v[42:43], v[240:241], -v[236:237]
	v_add_f64 v[236:237], v[32:33], v[20:21]
	v_add_f64 v[238:239], v[34:35], v[22:23]
	v_add_f64 v[240:241], v[32:33], -v[20:21]
	v_add_f64 v[242:243], v[34:35], -v[22:23]
	;; [unrolled: 1-line block ×6, first 2 shown]
	v_add_f64 v[244:245], v[40:41], v[28:29]
	v_add_f64 v[246:247], v[42:43], v[30:31]
	v_add_f64 v[248:249], v[40:41], -v[28:29]
	v_add_f64 v[252:253], v[42:43], -v[30:31]
	;; [unrolled: 1-line block ×4, first 2 shown]
	v_add_f64 v[36:37], v[36:37], v[236:237]
	v_add_f64 v[38:39], v[38:39], v[238:239]
	v_add_f64 v[40:41], v[24:25], -v[40:41]
	v_add_f64 v[42:43], v[26:27], -v[42:43]
	v_add_f64 v[24:25], v[244:245], v[24:25]
	v_add_f64 v[26:27], v[246:247], v[26:27]
	v_mul_f64 v[20:21], v[20:21], s[4:5]
	v_mul_f64 v[22:23], v[22:23], s[4:5]
	v_add_f64 v[220:221], v[220:221], v[36:37]
	v_add_f64 v[222:223], v[222:223], v[38:39]
	v_mul_f64 v[236:237], v[32:33], s[6:7]
	v_mul_f64 v[238:239], v[34:35], s[6:7]
	;; [unrolled: 1-line block ×6, first 2 shown]
	v_fma_f64 v[36:37], v[36:37], s[16:17], v[220:221]
	v_fma_f64 v[38:39], v[38:39], s[16:17], v[222:223]
	;; [unrolled: 1-line block ×4, first 2 shown]
	v_fma_f64 v[236:237], v[240:241], s[18:19], -v[236:237]
	v_fma_f64 v[238:239], v[242:243], s[18:19], -v[238:239]
	;; [unrolled: 1-line block ×4, first 2 shown]
	v_fma_f64 v[240:241], v[40:41], s[24:25], v[244:245]
	v_fma_f64 v[242:243], v[42:43], s[24:25], v[246:247]
	v_fma_f64 v[28:29], v[28:29], s[12:13], -v[244:245]
	v_fma_f64 v[30:31], v[30:31], s[12:13], -v[246:247]
	;; [unrolled: 1-line block ×4, first 2 shown]
	v_add_f64 v[32:33], v[32:33], v[36:37]
	v_add_f64 v[34:35], v[34:35], v[38:39]
	;; [unrolled: 1-line block ×6, first 2 shown]
	v_fma_f64 v[36:37], v[24:25], s[20:21], v[240:241]
	v_fma_f64 v[38:39], v[26:27], s[20:21], v[242:243]
	;; [unrolled: 1-line block ×6, first 2 shown]
	v_add_f64 v[238:239], v[34:35], -v[36:37]
	v_add_f64 v[236:237], v[38:39], v[32:33]
	v_add_f64 v[254:255], v[28:29], v[246:247]
	v_add_f64 v[252:253], v[244:245], -v[30:31]
	v_add_f64 v[242:243], v[22:23], -v[24:25]
	v_add_f64 v[240:241], v[26:27], v[20:21]
	v_add_f64 v[244:245], v[30:31], v[244:245]
	v_add_f64 v[246:247], v[246:247], -v[28:29]
	v_add_f64 v[20:21], v[20:21], -v[26:27]
	v_add_f64 v[22:23], v[24:25], v[22:23]
	v_add_f64 v[24:25], v[32:33], -v[38:39]
	v_add_f64 v[26:27], v[36:37], v[34:35]
	ds_write_b128 v16, v[0:3]
	ds_write_b128 v16, v[4:7] offset:4032
	ds_write_b128 v16, v[8:11] offset:8064
	;; [unrolled: 1-line block ×13, first 2 shown]
	v_add_co_u32_e64 v12, s[0:1], s0, v250
	v_addc_co_u32_e64 v13, s[0:1], 0, v251, s[0:1]
	s_movk_i32 s0, 0x6000
	v_add_co_u32_e64 v4, s[0:1], s0, v250
	v_addc_co_u32_e64 v5, s[0:1], 0, v251, s[0:1]
	s_waitcnt lgkmcnt(0)
	s_barrier
	global_load_dwordx4 v[4:7], v[4:5], off offset:3648
	ds_read_b128 v[0:3], v16
	s_mov_b32 s0, 0xa000
	v_add_co_u32_e64 v14, s[0:1], s0, v250
	v_addc_co_u32_e64 v15, s[0:1], 0, v251, s[0:1]
	s_mov_b32 s0, 0xb000
	v_lshlrev_b32_e32 v28, 5, v17
	s_waitcnt vmcnt(0) lgkmcnt(0)
	v_mul_f64 v[8:9], v[2:3], v[6:7]
	v_fma_f64 v[8:9], v[0:1], v[4:5], -v[8:9]
	v_mul_f64 v[0:1], v[0:1], v[6:7]
	v_fma_f64 v[10:11], v[2:3], v[4:5], v[0:1]
	global_load_dwordx4 v[4:7], v[14:15], off offset:1376
	ds_read_b128 v[0:3], v16 offset:14112
	ds_write_b128 v16, v[8:11]
	s_waitcnt vmcnt(0) lgkmcnt(1)
	v_mul_f64 v[8:9], v[2:3], v[6:7]
	v_fma_f64 v[8:9], v[0:1], v[4:5], -v[8:9]
	v_mul_f64 v[0:1], v[0:1], v[6:7]
	v_fma_f64 v[10:11], v[2:3], v[4:5], v[0:1]
	global_load_dwordx4 v[4:7], v[12:13], off offset:2016
	ds_read_b128 v[0:3], v16 offset:2016
	ds_write_b128 v16, v[8:11] offset:14112
	s_waitcnt vmcnt(0) lgkmcnt(1)
	v_mul_f64 v[8:9], v[2:3], v[6:7]
	v_fma_f64 v[8:9], v[0:1], v[4:5], -v[8:9]
	v_mul_f64 v[0:1], v[0:1], v[6:7]
	v_fma_f64 v[10:11], v[2:3], v[4:5], v[0:1]
	global_load_dwordx4 v[4:7], v[14:15], off offset:3392
	ds_read_b128 v[0:3], v16 offset:16128
	ds_write_b128 v16, v[8:11] offset:2016
	s_waitcnt vmcnt(0) lgkmcnt(1)
	v_mul_f64 v[8:9], v[2:3], v[6:7]
	v_fma_f64 v[8:9], v[0:1], v[4:5], -v[8:9]
	v_mul_f64 v[0:1], v[0:1], v[6:7]
	v_fma_f64 v[10:11], v[2:3], v[4:5], v[0:1]
	global_load_dwordx4 v[4:7], v[12:13], off offset:4032
	ds_read_b128 v[0:3], v16 offset:4032
	v_add_co_u32_e64 v12, s[0:1], s0, v250
	v_addc_co_u32_e64 v13, s[0:1], 0, v251, s[0:1]
	s_mov_b32 s0, 0x8000
	ds_write_b128 v16, v[8:11] offset:16128
	v_add_co_u32_e64 v14, s[0:1], s0, v250
	v_addc_co_u32_e64 v15, s[0:1], 0, v251, s[0:1]
	s_mov_b32 s0, 0xc000
	s_waitcnt vmcnt(0) lgkmcnt(1)
	v_mul_f64 v[8:9], v[2:3], v[6:7]
	v_fma_f64 v[8:9], v[0:1], v[4:5], -v[8:9]
	v_mul_f64 v[0:1], v[0:1], v[6:7]
	v_fma_f64 v[10:11], v[2:3], v[4:5], v[0:1]
	global_load_dwordx4 v[4:7], v[12:13], off offset:1312
	ds_read_b128 v[0:3], v16 offset:18144
	ds_write_b128 v16, v[8:11] offset:4032
	s_waitcnt vmcnt(0) lgkmcnt(1)
	v_mul_f64 v[8:9], v[2:3], v[6:7]
	v_fma_f64 v[8:9], v[0:1], v[4:5], -v[8:9]
	v_mul_f64 v[0:1], v[0:1], v[6:7]
	v_fma_f64 v[10:11], v[2:3], v[4:5], v[0:1]
	global_load_dwordx4 v[4:7], v[14:15], off offset:1504
	ds_read_b128 v[0:3], v16 offset:6048
	ds_write_b128 v16, v[8:11] offset:18144
	s_waitcnt vmcnt(0) lgkmcnt(1)
	v_mul_f64 v[8:9], v[2:3], v[6:7]
	v_fma_f64 v[8:9], v[0:1], v[4:5], -v[8:9]
	v_mul_f64 v[0:1], v[0:1], v[6:7]
	v_fma_f64 v[10:11], v[2:3], v[4:5], v[0:1]
	global_load_dwordx4 v[4:7], v[12:13], off offset:3328
	ds_read_b128 v[0:3], v16 offset:20160
	v_add_co_u32_e64 v12, s[0:1], s0, v250
	v_addc_co_u32_e64 v13, s[0:1], 0, v251, s[0:1]
	s_mov_b32 s0, 0x9000
	ds_write_b128 v16, v[8:11] offset:6048
	s_waitcnt vmcnt(0) lgkmcnt(1)
	v_mul_f64 v[8:9], v[2:3], v[6:7]
	v_fma_f64 v[8:9], v[0:1], v[4:5], -v[8:9]
	v_mul_f64 v[0:1], v[0:1], v[6:7]
	v_fma_f64 v[10:11], v[2:3], v[4:5], v[0:1]
	global_load_dwordx4 v[4:7], v[14:15], off offset:3520
	ds_read_b128 v[0:3], v16 offset:8064
	v_add_co_u32_e64 v14, s[0:1], s0, v250
	v_addc_co_u32_e64 v15, s[0:1], 0, v251, s[0:1]
	s_mov_b32 s0, 0xd000
	ds_write_b128 v16, v[8:11] offset:20160
	s_waitcnt vmcnt(0) lgkmcnt(1)
	v_mul_f64 v[8:9], v[2:3], v[6:7]
	v_fma_f64 v[8:9], v[0:1], v[4:5], -v[8:9]
	v_mul_f64 v[0:1], v[0:1], v[6:7]
	v_fma_f64 v[10:11], v[2:3], v[4:5], v[0:1]
	global_load_dwordx4 v[4:7], v[12:13], off offset:1248
	ds_read_b128 v[0:3], v16 offset:22176
	ds_write_b128 v16, v[8:11] offset:8064
	s_waitcnt vmcnt(0) lgkmcnt(1)
	v_mul_f64 v[8:9], v[2:3], v[6:7]
	v_fma_f64 v[8:9], v[0:1], v[4:5], -v[8:9]
	v_mul_f64 v[0:1], v[0:1], v[6:7]
	v_fma_f64 v[10:11], v[2:3], v[4:5], v[0:1]
	global_load_dwordx4 v[4:7], v[14:15], off offset:1440
	ds_read_b128 v[0:3], v16 offset:10080
	;; [unrolled: 8-line block ×4, first 2 shown]
	ds_write_b128 v16, v[8:11] offset:24192
	s_waitcnt vmcnt(0) lgkmcnt(1)
	v_mul_f64 v[8:9], v[2:3], v[6:7]
	v_fma_f64 v[8:9], v[0:1], v[4:5], -v[8:9]
	v_mul_f64 v[0:1], v[0:1], v[6:7]
	v_fma_f64 v[10:11], v[2:3], v[4:5], v[0:1]
	v_add_co_u32_e64 v4, s[0:1], s0, v250
	v_addc_co_u32_e64 v5, s[0:1], 0, v251, s[0:1]
	global_load_dwordx4 v[4:7], v[4:5], off offset:1184
	ds_read_b128 v[0:3], v16 offset:26208
	ds_write_b128 v16, v[8:11] offset:12096
	s_waitcnt vmcnt(0) lgkmcnt(1)
	v_mul_f64 v[8:9], v[2:3], v[6:7]
	v_fma_f64 v[8:9], v[0:1], v[4:5], -v[8:9]
	v_mul_f64 v[0:1], v[0:1], v[6:7]
	v_fma_f64 v[10:11], v[2:3], v[4:5], v[0:1]
	ds_write_b128 v16, v[8:11] offset:26208
	s_waitcnt lgkmcnt(0)
	s_barrier
	ds_read_b128 v[0:3], v16
	ds_read_b128 v[4:7], v16 offset:14112
	ds_read_b128 v[8:11], v16 offset:2016
	ds_read_b128 v[12:15], v16 offset:16128
	ds_read_b128 v[20:23], v16 offset:4032
	ds_read_b128 v[24:27], v16 offset:18144
	ds_read_b128 v[220:223], v16 offset:6048
	ds_read_b128 v[224:227], v16 offset:20160
	ds_read_b128 v[228:231], v16 offset:8064
	ds_read_b128 v[232:235], v16 offset:22176
	ds_read_b128 v[236:239], v16 offset:10080
	ds_read_b128 v[240:243], v16 offset:24192
	ds_read_b128 v[244:247], v16 offset:12096
	ds_read_b128 v[250:253], v16 offset:26208
	s_waitcnt lgkmcnt(12)
	v_add_f64 v[4:5], v[0:1], -v[4:5]
	v_add_f64 v[6:7], v[2:3], -v[6:7]
	s_waitcnt lgkmcnt(0)
	s_barrier
	v_add_f64 v[12:13], v[8:9], -v[12:13]
	v_add_f64 v[14:15], v[10:11], -v[14:15]
	;; [unrolled: 1-line block ×3, first 2 shown]
	v_fma_f64 v[0:1], v[0:1], 2.0, -v[4:5]
	v_fma_f64 v[2:3], v[2:3], 2.0, -v[6:7]
	ds_write_b128 v28, v[0:3]
	ds_write_b128 v28, v[4:7] offset:16
	buffer_load_dword v0, off, s[28:31], 0 offset:236 ; 4-byte Folded Reload
	v_fma_f64 v[8:9], v[8:9], 2.0, -v[12:13]
	v_fma_f64 v[10:11], v[10:11], 2.0, -v[14:15]
	s_waitcnt vmcnt(0)
	ds_write_b128 v0, v[8:11]
	ds_write_b128 v0, v[12:15] offset:16
	buffer_load_dword v0, off, s[28:31], 0 offset:240 ; 4-byte Folded Reload
	v_add_f64 v[26:27], v[22:23], -v[26:27]
	v_fma_f64 v[20:21], v[20:21], 2.0, -v[24:25]
	v_add_f64 v[224:225], v[220:221], -v[224:225]
	v_add_f64 v[226:227], v[222:223], -v[226:227]
	;; [unrolled: 1-line block ×6, first 2 shown]
	v_fma_f64 v[22:23], v[22:23], 2.0, -v[26:27]
	s_waitcnt vmcnt(0)
	ds_write_b128 v0, v[20:23]
	ds_write_b128 v0, v[24:27] offset:16
	buffer_load_dword v0, off, s[28:31], 0 offset:244 ; 4-byte Folded Reload
	v_fma_f64 v[220:221], v[220:221], 2.0, -v[224:225]
	v_fma_f64 v[222:223], v[222:223], 2.0, -v[226:227]
	s_waitcnt vmcnt(0)
	ds_write_b128 v0, v[220:223]
	ds_write_b128 v0, v[224:227] offset:16
	buffer_load_dword v0, off, s[28:31], 0 offset:248 ; 4-byte Folded Reload
	v_fma_f64 v[228:229], v[228:229], 2.0, -v[232:233]
	;; [unrolled: 6-line block ×3, first 2 shown]
	v_fma_f64 v[238:239], v[238:239], 2.0, -v[242:243]
	s_waitcnt vmcnt(0)
	ds_write_b128 v0, v[236:239]
	ds_write_b128 v0, v[240:243] offset:16
	buffer_load_dword v0, off, s[28:31], 0 offset:256 ; 4-byte Folded Reload
	v_add_f64 v[250:251], v[244:245], -v[250:251]
	v_add_f64 v[252:253], v[246:247], -v[252:253]
	v_fma_f64 v[244:245], v[244:245], 2.0, -v[250:251]
	v_fma_f64 v[246:247], v[246:247], 2.0, -v[252:253]
	s_waitcnt vmcnt(0)
	ds_write_b128 v0, v[244:247]
	ds_write_b128 v0, v[250:253] offset:16
	s_waitcnt lgkmcnt(0)
	s_barrier
	ds_read_b128 v[0:3], v16
	ds_read_b128 v[4:7], v16 offset:14112
	ds_read_b128 v[8:11], v16 offset:2016
	;; [unrolled: 1-line block ×13, first 2 shown]
	s_waitcnt lgkmcnt(12)
	v_mul_f64 v[28:29], v[106:107], v[6:7]
	s_waitcnt lgkmcnt(0)
	s_barrier
	v_fma_f64 v[28:29], v[104:105], v[4:5], v[28:29]
	v_mul_f64 v[4:5], v[106:107], v[4:5]
	v_fma_f64 v[6:7], v[104:105], v[6:7], -v[4:5]
	v_mul_f64 v[4:5], v[106:107], v[14:15]
	v_add_f64 v[6:7], v[2:3], -v[6:7]
	v_fma_f64 v[30:31], v[104:105], v[12:13], v[4:5]
	v_mul_f64 v[4:5], v[106:107], v[12:13]
	v_fma_f64 v[2:3], v[2:3], 2.0, -v[6:7]
	v_add_f64 v[12:13], v[8:9], -v[30:31]
	v_fma_f64 v[14:15], v[104:105], v[14:15], -v[4:5]
	v_mul_f64 v[4:5], v[106:107], v[26:27]
	v_fma_f64 v[8:9], v[8:9], 2.0, -v[12:13]
	v_add_f64 v[14:15], v[10:11], -v[14:15]
	v_fma_f64 v[32:33], v[104:105], v[24:25], v[4:5]
	v_mul_f64 v[4:5], v[106:107], v[24:25]
	v_fma_f64 v[10:11], v[10:11], 2.0, -v[14:15]
	v_add_f64 v[24:25], v[20:21], -v[32:33]
	v_fma_f64 v[26:27], v[104:105], v[26:27], -v[4:5]
	v_mul_f64 v[4:5], v[106:107], v[226:227]
	v_fma_f64 v[20:21], v[20:21], 2.0, -v[24:25]
	;; [unrolled: 8-line block ×3, first 2 shown]
	v_add_f64 v[226:227], v[222:223], -v[36:37]
	v_fma_f64 v[38:39], v[104:105], v[232:233], v[4:5]
	v_mul_f64 v[4:5], v[106:107], v[232:233]
	v_fma_f64 v[222:223], v[222:223], 2.0, -v[226:227]
	v_fma_f64 v[40:41], v[104:105], v[234:235], -v[4:5]
	v_mul_f64 v[4:5], v[106:107], v[242:243]
	v_fma_f64 v[42:43], v[104:105], v[240:241], v[4:5]
	v_mul_f64 v[4:5], v[106:107], v[240:241]
	v_add_f64 v[240:241], v[228:229], -v[38:39]
	v_fma_f64 v[232:233], v[104:105], v[242:243], -v[4:5]
	v_mul_f64 v[4:5], v[106:107], v[250:251]
	v_add_f64 v[242:243], v[230:231], -v[40:41]
	v_fma_f64 v[228:229], v[228:229], 2.0, -v[240:241]
	v_fma_f64 v[234:235], v[104:105], v[248:249], v[4:5]
	v_mul_f64 v[4:5], v[106:107], v[248:249]
	v_fma_f64 v[230:231], v[230:231], 2.0, -v[242:243]
	v_add_f64 v[248:249], v[236:237], -v[42:43]
	v_fma_f64 v[104:105], v[104:105], v[250:251], -v[4:5]
	v_add_f64 v[4:5], v[0:1], -v[28:29]
	buffer_load_dword v28, off, s[28:31], 0 offset:200 ; 4-byte Folded Reload
	v_add_f64 v[250:251], v[238:239], -v[232:233]
	v_fma_f64 v[236:237], v[236:237], 2.0, -v[248:249]
	v_add_f64 v[232:233], v[244:245], -v[234:235]
	v_add_f64 v[234:235], v[246:247], -v[104:105]
	v_fma_f64 v[0:1], v[0:1], 2.0, -v[4:5]
	s_waitcnt vmcnt(0)
	ds_write_b128 v28, v[0:3]
	ds_write_b128 v28, v[4:7] offset:32
	buffer_load_dword v0, off, s[28:31], 0 offset:204 ; 4-byte Folded Reload
	s_waitcnt vmcnt(0)
	ds_write_b128 v0, v[8:11]
	ds_write_b128 v0, v[12:15] offset:32
	buffer_load_dword v0, off, s[28:31], 0 offset:208 ; 4-byte Folded Reload
	s_waitcnt vmcnt(0)
	ds_write_b128 v0, v[20:23]
	ds_write_b128 v0, v[24:27] offset:32
	buffer_load_dword v0, off, s[28:31], 0 offset:212 ; 4-byte Folded Reload
	s_waitcnt vmcnt(0)
	ds_write_b128 v0, v[220:223]
	ds_write_b128 v0, v[224:227] offset:32
	buffer_load_dword v0, off, s[28:31], 0 offset:216 ; 4-byte Folded Reload
	s_waitcnt vmcnt(0)
	ds_write_b128 v0, v[228:231]
	ds_write_b128 v0, v[240:243] offset:32
	buffer_load_dword v0, off, s[28:31], 0 offset:220 ; 4-byte Folded Reload
	v_fma_f64 v[238:239], v[238:239], 2.0, -v[250:251]
	s_waitcnt vmcnt(0)
	ds_write_b128 v0, v[236:239]
	ds_write_b128 v0, v[248:251] offset:32
	buffer_load_dword v0, off, s[28:31], 0 offset:224 ; 4-byte Folded Reload
	v_fma_f64 v[104:105], v[244:245], 2.0, -v[232:233]
	v_fma_f64 v[106:107], v[246:247], 2.0, -v[234:235]
	s_waitcnt vmcnt(0)
	ds_write_b128 v0, v[104:107]
	ds_write_b128 v0, v[232:235] offset:32
	s_waitcnt lgkmcnt(0)
	s_barrier
	ds_read_b128 v[236:239], v16
	ds_read_b128 v[12:15], v16 offset:9408
	ds_read_b128 v[8:11], v16 offset:18816
	;; [unrolled: 1-line block ×11, first 2 shown]
	s_and_saveexec_b64 s[0:1], vcc
	s_cbranch_execz .LBB0_11
; %bb.10:
	ds_read_b128 v[104:107], v16 offset:8064
	ds_read_b128 v[232:235], v16 offset:17472
	;; [unrolled: 1-line block ×3, first 2 shown]
.LBB0_11:
	s_or_b64 exec, exec, s[0:1]
	buffer_load_dword v24, off, s[28:31], 0 offset:264 ; 4-byte Folded Reload
	buffer_load_dword v25, off, s[28:31], 0 offset:268 ; 4-byte Folded Reload
	s_waitcnt lgkmcnt(10)
	v_mul_f64 v[20:21], v[86:87], v[14:15]
	s_mov_b32 s0, 0xe8584caa
	s_mov_b32 s1, 0xbfebb67a
	;; [unrolled: 1-line block ×4, first 2 shown]
	v_fma_f64 v[20:21], v[84:85], v[12:13], v[20:21]
	v_mul_f64 v[12:13], v[86:87], v[12:13]
	v_fma_f64 v[12:13], v[84:85], v[14:15], -v[12:13]
	s_waitcnt lgkmcnt(9)
	v_mul_f64 v[14:15], v[98:99], v[10:11]
	v_fma_f64 v[14:15], v[96:97], v[8:9], v[14:15]
	v_mul_f64 v[8:9], v[98:99], v[8:9]
	v_fma_f64 v[10:11], v[96:97], v[10:11], -v[8:9]
	s_waitcnt lgkmcnt(7)
	v_mul_f64 v[8:9], v[110:111], v[6:7]
	s_waitcnt vmcnt(0)
	v_fma_f64 v[22:23], v[24:25], v[4:5], v[8:9]
	v_mul_f64 v[4:5], v[110:111], v[4:5]
	v_fma_f64 v[26:27], v[24:25], v[6:7], -v[4:5]
	s_waitcnt lgkmcnt(6)
	v_mul_f64 v[4:5], v[114:115], v[2:3]
	v_add_f64 v[6:7], v[12:13], -v[10:11]
	v_fma_f64 v[28:29], v[118:119], v[0:1], v[4:5]
	v_mul_f64 v[0:1], v[114:115], v[0:1]
	v_fma_f64 v[30:31], v[118:119], v[2:3], -v[0:1]
	buffer_load_dword v2, off, s[28:31], 0 offset:228 ; 4-byte Folded Reload
	buffer_load_dword v3, off, s[28:31], 0 offset:232 ; 4-byte Folded Reload
	s_waitcnt lgkmcnt(4)
	v_mul_f64 v[0:1], v[86:87], v[254:255]
	s_waitcnt vmcnt(0) lgkmcnt(0)
	s_barrier
	v_add_f64 v[24:25], v[26:27], -v[30:31]
	v_fma_f64 v[32:33], v[84:85], v[252:253], v[0:1]
	v_mul_f64 v[0:1], v[86:87], v[252:253]
	v_fma_f64 v[34:35], v[84:85], v[254:255], -v[0:1]
	v_mul_f64 v[0:1], v[98:99], v[250:251]
	v_fma_f64 v[36:37], v[96:97], v[248:249], v[0:1]
	v_mul_f64 v[0:1], v[98:99], v[248:249]
	v_fma_f64 v[38:39], v[96:97], v[250:251], -v[0:1]
	v_mul_f64 v[0:1], v[116:117], v[246:247]
	v_fma_f64 v[40:41], v[108:109], v[244:245], v[0:1]
	v_mul_f64 v[0:1], v[116:117], v[244:245]
	v_fma_f64 v[42:43], v[108:109], v[246:247], -v[0:1]
	v_mul_f64 v[0:1], v[2:3], v[242:243]
	v_fma_f64 v[244:245], v[112:113], v[240:241], v[0:1]
	v_mul_f64 v[0:1], v[2:3], v[240:241]
	v_add_f64 v[2:3], v[20:21], v[14:15]
	v_fma_f64 v[240:241], v[112:113], v[242:243], -v[0:1]
	v_mul_f64 v[0:1], v[86:87], v[234:235]
	v_fma_f64 v[2:3], v[2:3], -0.5, v[236:237]
	v_fma_f64 v[242:243], v[84:85], v[232:233], v[0:1]
	v_mul_f64 v[0:1], v[86:87], v[232:233]
	v_fma_f64 v[4:5], v[6:7], s[0:1], v[2:3]
	v_fma_f64 v[8:9], v[6:7], s[4:5], v[2:3]
	v_add_f64 v[2:3], v[238:239], v[12:13]
	v_add_f64 v[6:7], v[12:13], v[10:11]
	v_add_f64 v[12:13], v[20:21], -v[14:15]
	v_fma_f64 v[232:233], v[84:85], v[234:235], -v[0:1]
	v_mul_f64 v[0:1], v[98:99], v[218:219]
	v_add_f64 v[2:3], v[2:3], v[10:11]
	v_fma_f64 v[10:11], v[6:7], -0.5, v[238:239]
	v_fma_f64 v[234:235], v[96:97], v[216:217], v[0:1]
	v_mul_f64 v[0:1], v[98:99], v[216:217]
	v_fma_f64 v[6:7], v[12:13], s[4:5], v[10:11]
	v_fma_f64 v[10:11], v[12:13], s[0:1], v[10:11]
	v_add_f64 v[12:13], v[228:229], v[22:23]
	v_fma_f64 v[98:99], v[96:97], v[218:219], -v[0:1]
	v_add_f64 v[0:1], v[236:237], v[20:21]
	v_add_f64 v[12:13], v[12:13], v[28:29]
	;; [unrolled: 1-line block ×4, first 2 shown]
	v_add_f64 v[28:29], v[22:23], -v[28:29]
	v_fma_f64 v[14:15], v[14:15], -0.5, v[228:229]
	v_fma_f64 v[20:21], v[24:25], s[0:1], v[14:15]
	v_fma_f64 v[24:25], v[24:25], s[4:5], v[14:15]
	v_add_f64 v[14:15], v[230:231], v[26:27]
	v_add_f64 v[26:27], v[26:27], v[30:31]
	;; [unrolled: 1-line block ×3, first 2 shown]
	v_fma_f64 v[26:27], v[26:27], -0.5, v[230:231]
	v_add_f64 v[30:31], v[34:35], -v[38:39]
	v_fma_f64 v[22:23], v[28:29], s[4:5], v[26:27]
	v_fma_f64 v[26:27], v[28:29], s[0:1], v[26:27]
	v_add_f64 v[28:29], v[224:225], v[32:33]
	v_add_f64 v[108:109], v[28:29], v[36:37]
	;; [unrolled: 1-line block ×3, first 2 shown]
	v_fma_f64 v[28:29], v[28:29], -0.5, v[224:225]
	v_fma_f64 v[112:113], v[30:31], s[0:1], v[28:29]
	v_fma_f64 v[116:117], v[30:31], s[4:5], v[28:29]
	v_add_f64 v[28:29], v[226:227], v[34:35]
	v_add_f64 v[30:31], v[32:33], -v[36:37]
	v_add_f64 v[110:111], v[28:29], v[38:39]
	v_add_f64 v[28:29], v[34:35], v[38:39]
	v_fma_f64 v[28:29], v[28:29], -0.5, v[226:227]
	v_fma_f64 v[114:115], v[30:31], s[4:5], v[28:29]
	v_fma_f64 v[118:119], v[30:31], s[0:1], v[28:29]
	v_add_f64 v[28:29], v[220:221], v[40:41]
	v_add_f64 v[30:31], v[42:43], -v[240:241]
	v_add_f64 v[216:217], v[28:29], v[244:245]
	v_add_f64 v[28:29], v[40:41], v[244:245]
	;; [unrolled: 7-line block ×5, first 2 shown]
	v_fma_f64 v[28:29], v[28:29], -0.5, v[106:107]
	v_fma_f64 v[98:99], v[30:31], s[4:5], v[28:29]
	v_fma_f64 v[106:107], v[30:31], s[0:1], v[28:29]
	buffer_load_dword v28, off, s[28:31], 0 offset:184 ; 4-byte Folded Reload
	s_waitcnt vmcnt(0)
	ds_write_b128 v28, v[0:3]
	ds_write_b128 v28, v[4:7] offset:64
	ds_write_b128 v28, v[8:11] offset:128
	buffer_load_dword v0, off, s[28:31], 0 offset:188 ; 4-byte Folded Reload
	s_waitcnt vmcnt(0)
	ds_write_b128 v0, v[12:15]
	ds_write_b128 v0, v[20:23] offset:64
	ds_write_b128 v0, v[24:27] offset:128
	;; [unrolled: 5-line block ×4, first 2 shown]
	s_and_saveexec_b64 s[0:1], vcc
	s_cbranch_execz .LBB0_13
; %bb.12:
	buffer_load_dword v0, off, s[28:31], 0 offset:288 ; 4-byte Folded Reload
	v_and_b32_e32 v1, 3, v17
	s_waitcnt vmcnt(0)
	v_mul_u32_u24_e32 v0, 12, v0
	v_or_b32_e32 v0, v0, v1
	v_lshlrev_b32_e32 v0, 4, v0
	ds_write_b128 v0, v[84:87]
	ds_write_b128 v0, v[96:99] offset:64
	ds_write_b128 v0, v[104:107] offset:128
.LBB0_13:
	s_or_b64 exec, exec, s[0:1]
	s_waitcnt lgkmcnt(0)
	s_barrier
	ds_read_b128 v[216:219], v16
	ds_read_b128 v[116:119], v16 offset:2016
	ds_read_b128 v[12:15], v16 offset:9408
	;; [unrolled: 1-line block ×11, first 2 shown]
	s_and_saveexec_b64 s[0:1], vcc
	s_cbranch_execz .LBB0_15
; %bb.14:
	ds_read_b128 v[84:87], v16 offset:8064
	ds_read_b128 v[96:99], v16 offset:17472
	ds_read_b128 v[104:107], v16 offset:26880
.LBB0_15:
	s_or_b64 exec, exec, s[0:1]
	s_waitcnt lgkmcnt(9)
	v_mul_f64 v[20:21], v[70:71], v[14:15]
	s_mov_b32 s0, 0xe8584caa
	s_mov_b32 s1, 0xbfebb67a
	;; [unrolled: 1-line block ×3, first 2 shown]
	s_waitcnt lgkmcnt(0)
	s_barrier
	v_fma_f64 v[20:21], v[68:69], v[12:13], v[20:21]
	v_mul_f64 v[12:13], v[70:71], v[12:13]
	v_fma_f64 v[12:13], v[68:69], v[14:15], -v[12:13]
	v_mul_f64 v[14:15], v[66:67], v[10:11]
	v_fma_f64 v[14:15], v[64:65], v[8:9], v[14:15]
	v_mul_f64 v[8:9], v[66:67], v[8:9]
	v_fma_f64 v[10:11], v[64:65], v[10:11], -v[8:9]
	v_mul_f64 v[8:9], v[78:79], v[6:7]
	;; [unrolled: 4-line block ×3, first 2 shown]
	v_add_f64 v[6:7], v[12:13], -v[10:11]
	v_fma_f64 v[28:29], v[72:73], v[232:233], v[4:5]
	v_mul_f64 v[4:5], v[74:75], v[232:233]
	v_fma_f64 v[30:31], v[72:73], v[234:235], -v[4:5]
	v_mul_f64 v[4:5], v[90:91], v[2:3]
	v_add_f64 v[24:25], v[26:27], -v[30:31]
	v_fma_f64 v[32:33], v[88:89], v[0:1], v[4:5]
	v_mul_f64 v[0:1], v[90:91], v[0:1]
	v_fma_f64 v[34:35], v[88:89], v[2:3], -v[0:1]
	v_mul_f64 v[0:1], v[82:83], v[230:231]
	v_add_f64 v[2:3], v[20:21], v[14:15]
	v_fma_f64 v[36:37], v[80:81], v[228:229], v[0:1]
	v_mul_f64 v[0:1], v[82:83], v[228:229]
	v_fma_f64 v[2:3], v[2:3], -0.5, v[216:217]
	v_fma_f64 v[38:39], v[80:81], v[230:231], -v[0:1]
	v_mul_f64 v[0:1], v[102:103], v[226:227]
	v_fma_f64 v[4:5], v[6:7], s[0:1], v[2:3]
	v_fma_f64 v[8:9], v[6:7], s[4:5], v[2:3]
	v_add_f64 v[2:3], v[218:219], v[12:13]
	v_add_f64 v[6:7], v[12:13], v[10:11]
	v_add_f64 v[12:13], v[20:21], -v[14:15]
	v_fma_f64 v[40:41], v[100:101], v[224:225], v[0:1]
	v_mul_f64 v[0:1], v[102:103], v[224:225]
	v_add_f64 v[2:3], v[2:3], v[10:11]
	v_fma_f64 v[10:11], v[6:7], -0.5, v[218:219]
	v_fma_f64 v[42:43], v[100:101], v[226:227], -v[0:1]
	v_mul_f64 v[0:1], v[94:95], v[222:223]
	v_fma_f64 v[6:7], v[12:13], s[4:5], v[10:11]
	v_fma_f64 v[10:11], v[12:13], s[0:1], v[10:11]
	v_add_f64 v[12:13], v[116:117], v[22:23]
	v_fma_f64 v[82:83], v[92:93], v[220:221], v[0:1]
	v_mul_f64 v[0:1], v[94:95], v[220:221]
	v_add_f64 v[12:13], v[12:13], v[28:29]
	v_fma_f64 v[90:91], v[92:93], v[222:223], -v[0:1]
	v_add_f64 v[0:1], v[216:217], v[20:21]
	v_add_f64 v[0:1], v[0:1], v[14:15]
	;; [unrolled: 1-line block ×3, first 2 shown]
	v_add_f64 v[28:29], v[22:23], -v[28:29]
	v_fma_f64 v[14:15], v[14:15], -0.5, v[116:117]
	v_fma_f64 v[20:21], v[24:25], s[0:1], v[14:15]
	v_fma_f64 v[24:25], v[24:25], s[4:5], v[14:15]
	v_add_f64 v[14:15], v[118:119], v[26:27]
	v_add_f64 v[26:27], v[26:27], v[30:31]
	;; [unrolled: 1-line block ×3, first 2 shown]
	v_fma_f64 v[26:27], v[26:27], -0.5, v[118:119]
	v_add_f64 v[30:31], v[34:35], -v[38:39]
	v_fma_f64 v[22:23], v[28:29], s[4:5], v[26:27]
	v_fma_f64 v[26:27], v[28:29], s[0:1], v[26:27]
	v_add_f64 v[28:29], v[112:113], v[32:33]
	v_add_f64 v[64:65], v[28:29], v[36:37]
	;; [unrolled: 1-line block ×3, first 2 shown]
	v_fma_f64 v[28:29], v[28:29], -0.5, v[112:113]
	v_fma_f64 v[68:69], v[30:31], s[0:1], v[28:29]
	v_fma_f64 v[72:73], v[30:31], s[4:5], v[28:29]
	v_add_f64 v[28:29], v[114:115], v[34:35]
	v_add_f64 v[30:31], v[32:33], -v[36:37]
	v_add_f64 v[66:67], v[28:29], v[38:39]
	v_add_f64 v[28:29], v[34:35], v[38:39]
	v_fma_f64 v[28:29], v[28:29], -0.5, v[114:115]
	v_fma_f64 v[70:71], v[30:31], s[4:5], v[28:29]
	v_fma_f64 v[74:75], v[30:31], s[0:1], v[28:29]
	v_add_f64 v[28:29], v[108:109], v[40:41]
	v_add_f64 v[30:31], v[42:43], -v[90:91]
	v_add_f64 v[76:77], v[28:29], v[82:83]
	v_add_f64 v[28:29], v[40:41], v[82:83]
	;; [unrolled: 7-line block ×3, first 2 shown]
	v_fma_f64 v[28:29], v[28:29], -0.5, v[110:111]
	v_fma_f64 v[82:83], v[30:31], s[4:5], v[28:29]
	v_fma_f64 v[90:91], v[30:31], s[0:1], v[28:29]
	buffer_load_dword v28, off, s[28:31], 0 offset:272 ; 4-byte Folded Reload
	s_waitcnt vmcnt(0)
	ds_write_b128 v28, v[0:3]
	ds_write_b128 v28, v[4:7] offset:192
	ds_write_b128 v28, v[8:11] offset:384
	buffer_load_dword v0, off, s[28:31], 0 offset:276 ; 4-byte Folded Reload
	s_waitcnt vmcnt(0)
	ds_write_b128 v0, v[12:15]
	ds_write_b128 v0, v[20:23] offset:192
	ds_write_b128 v0, v[24:27] offset:384
	;; [unrolled: 5-line block ×4, first 2 shown]
	s_and_saveexec_b64 s[6:7], vcc
	s_cbranch_execz .LBB0_17
; %bb.16:
	v_mul_f64 v[0:1], v[62:63], v[96:97]
	v_mul_f64 v[2:3], v[58:59], v[104:105]
	;; [unrolled: 1-line block ×4, first 2 shown]
	v_fma_f64 v[0:1], v[60:61], v[98:99], -v[0:1]
	v_fma_f64 v[2:3], v[56:57], v[106:107], -v[2:3]
	v_fma_f64 v[4:5], v[60:61], v[96:97], v[4:5]
	v_fma_f64 v[6:7], v[56:57], v[104:105], v[6:7]
	v_add_f64 v[14:15], v[86:87], v[0:1]
	v_add_f64 v[8:9], v[0:1], v[2:3]
	v_add_f64 v[20:21], v[0:1], -v[2:3]
	v_add_f64 v[10:11], v[4:5], v[6:7]
	v_add_f64 v[12:13], v[4:5], -v[6:7]
	v_add_f64 v[4:5], v[84:85], v[4:5]
	v_add_f64 v[2:3], v[14:15], v[2:3]
	v_fma_f64 v[8:9], v[8:9], -0.5, v[86:87]
	v_fma_f64 v[22:23], v[10:11], -0.5, v[84:85]
	v_add_f64 v[0:1], v[4:5], v[6:7]
	v_fma_f64 v[6:7], v[12:13], s[0:1], v[8:9]
	v_fma_f64 v[10:11], v[12:13], s[4:5], v[8:9]
	buffer_load_dword v12, off, s[28:31], 0 offset:260 ; 4-byte Folded Reload
	v_fma_f64 v[8:9], v[20:21], s[0:1], v[22:23]
	v_fma_f64 v[4:5], v[20:21], s[4:5], v[22:23]
	s_waitcnt vmcnt(0)
	v_lshlrev_b32_e32 v12, 4, v12
	ds_write_b128 v12, v[0:3]
	ds_write_b128 v12, v[8:11] offset:192
	ds_write_b128 v12, v[4:7] offset:384
.LBB0_17:
	s_or_b64 exec, exec, s[6:7]
	buffer_load_dword v98, off, s[28:31], 0 offset:80 ; 4-byte Folded Reload
	buffer_load_dword v99, off, s[28:31], 0 offset:84 ; 4-byte Folded Reload
	s_waitcnt vmcnt(0) lgkmcnt(0)
	s_barrier
	ds_read_b128 v[2:5], v16
	ds_read_b128 v[6:9], v16 offset:2016
	ds_read_b128 v[10:13], v16 offset:4032
	ds_read_b128 v[20:23], v16 offset:6048
	ds_read_b128 v[24:27], v16 offset:8064
	ds_read_b128 v[56:59], v16 offset:10080
	ds_read_b128 v[60:63], v16 offset:12096
	ds_read_b128 v[64:67], v16 offset:14112
	ds_read_b128 v[68:71], v16 offset:16128
	ds_read_b128 v[72:75], v16 offset:18144
	ds_read_b128 v[76:79], v16 offset:20160
	ds_read_b128 v[80:83], v16 offset:22176
	s_waitcnt lgkmcnt(9)
	v_mul_f64 v[14:15], v[142:143], v[12:13]
	v_mul_f64 v[28:29], v[142:143], v[10:11]
	s_waitcnt lgkmcnt(7)
	v_mul_f64 v[30:31], v[138:139], v[26:27]
	v_mul_f64 v[32:33], v[138:139], v[24:25]
	;; [unrolled: 3-line block ×3, first 2 shown]
	ds_read_b128 v[84:87], v16 offset:24192
	ds_read_b128 v[88:91], v16 offset:26208
	v_mul_f64 v[42:43], v[162:163], v[22:23]
	v_fma_f64 v[10:11], v[140:141], v[10:11], v[14:15]
	v_fma_f64 v[12:13], v[140:141], v[12:13], -v[28:29]
	v_fma_f64 v[14:15], v[136:137], v[24:25], v[30:31]
	v_fma_f64 v[24:25], v[136:137], v[26:27], -v[32:33]
	;; [unrolled: 2-line block ×3, first 2 shown]
	s_waitcnt lgkmcnt(5)
	v_mul_f64 v[30:31], v[122:123], v[70:71]
	s_waitcnt lgkmcnt(3)
	v_mul_f64 v[34:35], v[146:147], v[78:79]
	v_mul_f64 v[36:37], v[146:147], v[76:77]
	s_waitcnt lgkmcnt(1)
	v_mul_f64 v[38:39], v[134:135], v[86:87]
	v_mul_f64 v[40:41], v[134:135], v[84:85]
	;; [unrolled: 1-line block ×4, first 2 shown]
	v_fma_f64 v[42:43], v[160:161], v[20:21], v[42:43]
	v_fma_f64 v[30:31], v[120:121], v[68:69], v[30:31]
	;; [unrolled: 1-line block ×3, first 2 shown]
	v_fma_f64 v[36:37], v[144:145], v[78:79], -v[36:37]
	v_fma_f64 v[38:39], v[132:133], v[84:85], v[38:39]
	v_fma_f64 v[40:41], v[132:133], v[86:87], -v[40:41]
	v_fma_f64 v[68:69], v[160:161], v[22:23], -v[60:61]
	v_mul_f64 v[20:21], v[158:159], v[58:59]
	v_mul_f64 v[22:23], v[158:159], v[56:57]
	v_fma_f64 v[32:33], v[120:121], v[70:71], -v[32:33]
	v_mul_f64 v[60:61], v[154:155], v[66:67]
	v_mul_f64 v[62:63], v[154:155], v[64:65]
	;; [unrolled: 1-line block ×5, first 2 shown]
	v_fma_f64 v[86:87], v[156:157], v[56:57], v[20:21]
	v_fma_f64 v[92:93], v[156:157], v[58:59], -v[22:23]
	v_add_f64 v[56:57], v[10:11], v[38:39]
	v_add_f64 v[58:59], v[12:13], v[40:41]
	v_add_f64 v[10:11], v[10:11], -v[38:39]
	v_add_f64 v[12:13], v[12:13], -v[40:41]
	v_add_f64 v[38:39], v[14:15], v[34:35]
	v_add_f64 v[40:41], v[24:25], v[36:37]
	v_mul_f64 v[84:85], v[166:167], v[80:81]
	v_add_f64 v[14:15], v[14:15], -v[34:35]
	v_add_f64 v[24:25], v[24:25], -v[36:37]
	v_add_f64 v[34:35], v[26:27], v[30:31]
	v_add_f64 v[36:37], v[28:29], v[32:33]
	v_add_f64 v[26:27], v[30:31], -v[26:27]
	v_add_f64 v[28:29], v[32:33], -v[28:29]
	v_add_f64 v[30:31], v[38:39], v[56:57]
	v_add_f64 v[32:33], v[40:41], v[58:59]
	v_fma_f64 v[64:65], v[152:153], v[64:65], v[60:61]
	v_fma_f64 v[66:67], v[152:153], v[66:67], -v[62:63]
	v_fma_f64 v[70:71], v[148:149], v[72:73], v[70:71]
	v_fma_f64 v[72:73], v[148:149], v[74:75], -v[76:77]
	;; [unrolled: 2-line block ×3, first 2 shown]
	v_add_f64 v[60:61], v[38:39], -v[56:57]
	v_add_f64 v[62:63], v[40:41], -v[58:59]
	;; [unrolled: 1-line block ×6, first 2 shown]
	v_add_f64 v[78:79], v[26:27], v[14:15]
	v_add_f64 v[80:81], v[28:29], v[24:25]
	v_add_f64 v[82:83], v[26:27], -v[14:15]
	v_add_f64 v[84:85], v[28:29], -v[24:25]
	v_add_f64 v[30:31], v[34:35], v[30:31]
	v_add_f64 v[32:33], v[36:37], v[32:33]
	v_add_f64 v[14:15], v[14:15], -v[10:11]
	v_add_f64 v[24:25], v[24:25], -v[12:13]
	s_mov_b32 s4, 0x37e14327
	s_mov_b32 s12, 0xe976ee23
	v_mad_u64_u32 v[0:1], s[0:1], s10, v98, 0
	s_mov_b32 s0, 0x36b3c0b5
	s_mov_b32 s6, 0x429ad128
	s_mov_b32 s5, 0x3fe948f6
	s_mov_b32 s1, 0x3fac98ee
	s_mov_b32 s13, 0x3fe11646
	s_mov_b32 s7, 0xbfebfeb5
	v_add_f64 v[26:27], v[10:11], -v[26:27]
	v_add_f64 v[28:29], v[12:13], -v[28:29]
	v_add_f64 v[10:11], v[78:79], v[10:11]
	v_add_f64 v[12:13], v[80:81], v[12:13]
	;; [unrolled: 1-line block ×4, first 2 shown]
	v_mul_f64 v[34:35], v[56:57], s[4:5]
	v_mul_f64 v[36:37], v[58:59], s[4:5]
	;; [unrolled: 1-line block ×8, first 2 shown]
	s_mov_b32 s14, 0xaaaaaaaa
	s_mov_b32 s16, 0x5476071b
	;; [unrolled: 1-line block ×10, first 2 shown]
	s_waitcnt lgkmcnt(0)
	v_mul_f64 v[20:21], v[126:127], v[90:91]
	v_mul_f64 v[22:23], v[126:127], v[88:89]
	v_fma_f64 v[30:31], v[30:31], s[14:15], v[2:3]
	v_fma_f64 v[32:33], v[32:33], s[14:15], v[4:5]
	;; [unrolled: 1-line block ×4, first 2 shown]
	v_fma_f64 v[56:57], v[60:61], s[16:17], -v[56:57]
	v_fma_f64 v[58:59], v[62:63], s[16:17], -v[58:59]
	;; [unrolled: 1-line block ×4, first 2 shown]
	v_fma_f64 v[60:61], v[26:27], s[20:21], v[78:79]
	v_fma_f64 v[62:63], v[28:29], s[20:21], v[80:81]
	v_fma_f64 v[14:15], v[14:15], s[6:7], -v[78:79]
	v_fma_f64 v[24:25], v[24:25], s[6:7], -v[80:81]
	;; [unrolled: 1-line block ×4, first 2 shown]
	s_mov_b32 s22, 0x37c3f68c
	s_mov_b32 s23, 0xbfdc38aa
	v_add_f64 v[38:39], v[38:39], v[30:31]
	v_add_f64 v[40:41], v[40:41], v[32:33]
	;; [unrolled: 1-line block ×6, first 2 shown]
	v_fma_f64 v[34:35], v[12:13], s[22:23], v[62:63]
	v_fma_f64 v[36:37], v[10:11], s[22:23], v[60:61]
	;; [unrolled: 1-line block ×7, first 2 shown]
	v_fma_f64 v[80:81], v[124:125], v[90:91], -v[22:23]
	v_add_f64 v[10:11], v[34:35], v[38:39]
	v_add_f64 v[12:13], v[40:41], -v[36:37]
	v_add_f64 v[20:21], v[28:29], v[30:31]
	v_add_f64 v[22:23], v[32:33], -v[62:63]
	v_add_f64 v[24:25], v[56:57], -v[60:61]
	v_add_f64 v[26:27], v[14:15], v[58:59]
	v_add_f64 v[56:57], v[60:61], v[56:57]
	v_add_f64 v[58:59], v[58:59], -v[14:15]
	v_add_f64 v[60:61], v[30:31], -v[28:29]
	v_add_f64 v[62:63], v[62:63], v[32:33]
	v_add_f64 v[14:15], v[42:43], v[78:79]
	;; [unrolled: 1-line block ×3, first 2 shown]
	v_add_f64 v[30:31], v[42:43], -v[78:79]
	v_add_f64 v[32:33], v[68:69], -v[80:81]
	v_add_f64 v[42:43], v[86:87], v[74:75]
	v_add_f64 v[68:69], v[92:93], v[76:77]
	v_add_f64 v[74:75], v[86:87], -v[74:75]
	v_add_f64 v[76:77], v[92:93], -v[76:77]
	v_add_f64 v[78:79], v[64:65], v[70:71]
	v_add_f64 v[80:81], v[66:67], v[72:73]
	;; [unrolled: 4-line block ×3, first 2 shown]
	v_add_f64 v[82:83], v[42:43], -v[14:15]
	v_add_f64 v[84:85], v[68:69], -v[28:29]
	;; [unrolled: 1-line block ×6, first 2 shown]
	v_add_f64 v[86:87], v[64:65], v[74:75]
	v_add_f64 v[88:89], v[66:67], v[76:77]
	v_add_f64 v[90:91], v[64:65], -v[74:75]
	v_add_f64 v[92:93], v[66:67], -v[76:77]
	v_add_f64 v[70:71], v[78:79], v[70:71]
	v_add_f64 v[72:73], v[80:81], v[72:73]
	v_add_f64 v[74:75], v[74:75], -v[30:31]
	v_add_f64 v[76:77], v[76:77], -v[32:33]
	;; [unrolled: 1-line block ×4, first 2 shown]
	v_add_f64 v[30:31], v[86:87], v[30:31]
	v_add_f64 v[32:33], v[88:89], v[32:33]
	;; [unrolled: 1-line block ×4, first 2 shown]
	v_mul_f64 v[14:15], v[14:15], s[4:5]
	v_mul_f64 v[28:29], v[28:29], s[4:5]
	;; [unrolled: 1-line block ×8, first 2 shown]
	v_fma_f64 v[70:71], v[70:71], s[14:15], v[6:7]
	v_fma_f64 v[72:73], v[72:73], s[14:15], v[8:9]
	;; [unrolled: 1-line block ×4, first 2 shown]
	v_fma_f64 v[78:79], v[82:83], s[16:17], -v[78:79]
	v_fma_f64 v[80:81], v[84:85], s[16:17], -v[80:81]
	;; [unrolled: 1-line block ×4, first 2 shown]
	v_fma_f64 v[82:83], v[64:65], s[20:21], v[86:87]
	v_fma_f64 v[84:85], v[66:67], s[20:21], v[88:89]
	v_fma_f64 v[74:75], v[74:75], s[6:7], -v[86:87]
	v_fma_f64 v[76:77], v[76:77], s[6:7], -v[88:89]
	;; [unrolled: 1-line block ×4, first 2 shown]
	v_add_f64 v[42:43], v[42:43], v[70:71]
	v_add_f64 v[90:91], v[68:69], v[72:73]
	;; [unrolled: 1-line block ×6, first 2 shown]
	v_fma_f64 v[92:93], v[32:33], s[22:23], v[84:85]
	v_fma_f64 v[94:95], v[30:31], s[22:23], v[82:83]
	;; [unrolled: 1-line block ×6, first 2 shown]
	v_add_f64 v[64:65], v[38:39], -v[34:35]
	v_add_f64 v[66:67], v[36:37], v[40:41]
	v_add_f64 v[68:69], v[92:93], v[42:43]
	v_add_f64 v[70:71], v[90:91], -v[94:95]
	v_add_f64 v[72:73], v[84:85], v[14:15]
	v_add_f64 v[74:75], v[28:29], -v[96:97]
	v_add_f64 v[76:77], v[86:87], -v[32:33]
	v_add_f64 v[78:79], v[30:31], v[88:89]
	v_add_f64 v[80:81], v[32:33], v[86:87]
	v_add_f64 v[82:83], v[88:89], -v[30:31]
	v_add_f64 v[84:85], v[14:15], -v[84:85]
	v_add_f64 v[86:87], v[96:97], v[28:29]
	v_add_f64 v[88:89], v[42:43], -v[92:93]
	v_add_f64 v[90:91], v[94:95], v[90:91]
	s_barrier
	ds_write_b128 v19, v[2:5]
	ds_write_b128 v19, v[10:13] offset:576
	ds_write_b128 v19, v[20:23] offset:1152
	;; [unrolled: 1-line block ×6, first 2 shown]
	ds_write_b128 v18, v[6:9]
	ds_write_b128 v18, v[68:71] offset:576
	ds_write_b128 v18, v[72:75] offset:1152
	ds_write_b128 v18, v[76:79] offset:1728
	ds_write_b128 v18, v[80:83] offset:2304
	ds_write_b128 v18, v[84:87] offset:2880
	ds_write_b128 v18, v[88:91] offset:3456
	s_waitcnt lgkmcnt(0)
	s_barrier
	ds_read_b128 v[2:5], v16
	ds_read_b128 v[6:9], v16 offset:2016
	ds_read_b128 v[10:13], v16 offset:4032
	;; [unrolled: 1-line block ×11, first 2 shown]
	s_waitcnt lgkmcnt(9)
	v_mul_f64 v[14:15], v[182:183], v[12:13]
	v_mul_f64 v[26:27], v[182:183], v[10:11]
	s_waitcnt lgkmcnt(7)
	v_mul_f64 v[28:29], v[178:179], v[24:25]
	v_mul_f64 v[30:31], v[178:179], v[22:23]
	;; [unrolled: 3-line block ×3, first 2 shown]
	ds_read_b128 v[84:87], v16 offset:24192
	ds_read_b128 v[88:91], v16 offset:26208
	v_mul_f64 v[40:41], v[210:211], v[20:21]
	v_fma_f64 v[10:11], v[180:181], v[10:11], v[14:15]
	v_fma_f64 v[12:13], v[180:181], v[12:13], -v[26:27]
	v_fma_f64 v[14:15], v[176:177], v[22:23], v[28:29]
	v_fma_f64 v[22:23], v[176:177], v[24:25], -v[30:31]
	v_fma_f64 v[24:25], v[172:173], v[60:61], v[32:33]
	v_fma_f64 v[26:27], v[172:173], v[62:63], -v[34:35]
	s_waitcnt lgkmcnt(3)
	v_mul_f64 v[32:33], v[194:195], v[78:79]
	v_mul_f64 v[34:35], v[194:195], v[76:77]
	s_waitcnt lgkmcnt(1)
	v_mul_f64 v[36:37], v[190:191], v[86:87]
	v_mul_f64 v[38:39], v[190:191], v[84:85]
	;; [unrolled: 1-line block ×5, first 2 shown]
	v_fma_f64 v[40:41], v[208:209], v[18:19], v[40:41]
	v_fma_f64 v[32:33], v[192:193], v[76:77], v[32:33]
	v_fma_f64 v[34:35], v[192:193], v[78:79], -v[34:35]
	v_fma_f64 v[36:37], v[188:189], v[84:85], v[36:37]
	v_fma_f64 v[38:39], v[188:189], v[86:87], -v[38:39]
	v_fma_f64 v[42:43], v[208:209], v[20:21], -v[42:43]
	v_mul_f64 v[18:19], v[206:207], v[58:59]
	v_mul_f64 v[20:21], v[206:207], v[56:57]
	v_fma_f64 v[28:29], v[168:169], v[68:69], v[28:29]
	v_fma_f64 v[30:31], v[168:169], v[70:71], -v[30:31]
	v_mul_f64 v[60:61], v[202:203], v[66:67]
	v_mul_f64 v[62:63], v[202:203], v[64:65]
	;; [unrolled: 1-line block ×4, first 2 shown]
	v_fma_f64 v[84:85], v[204:205], v[56:57], v[18:19]
	v_fma_f64 v[86:87], v[204:205], v[58:59], -v[20:21]
	v_add_f64 v[56:57], v[10:11], v[36:37]
	v_add_f64 v[58:59], v[12:13], v[38:39]
	v_add_f64 v[10:11], v[10:11], -v[36:37]
	v_add_f64 v[12:13], v[12:13], -v[38:39]
	v_add_f64 v[36:37], v[14:15], v[32:33]
	v_add_f64 v[38:39], v[22:23], v[34:35]
	v_mul_f64 v[76:77], v[214:215], v[82:83]
	v_mul_f64 v[78:79], v[214:215], v[80:81]
	v_add_f64 v[14:15], v[14:15], -v[32:33]
	v_add_f64 v[22:23], v[22:23], -v[34:35]
	v_add_f64 v[32:33], v[24:25], v[28:29]
	v_add_f64 v[34:35], v[26:27], v[30:31]
	v_add_f64 v[24:25], v[28:29], -v[24:25]
	v_add_f64 v[26:27], v[30:31], -v[26:27]
	v_add_f64 v[28:29], v[36:37], v[56:57]
	v_add_f64 v[30:31], v[38:39], v[58:59]
	v_fma_f64 v[64:65], v[200:201], v[64:65], v[60:61]
	v_fma_f64 v[66:67], v[200:201], v[66:67], -v[62:63]
	v_fma_f64 v[68:69], v[196:197], v[72:73], v[68:69]
	v_fma_f64 v[70:71], v[196:197], v[74:75], -v[70:71]
	;; [unrolled: 2-line block ×3, first 2 shown]
	v_add_f64 v[60:61], v[36:37], -v[56:57]
	v_add_f64 v[62:63], v[38:39], -v[58:59]
	;; [unrolled: 1-line block ×6, first 2 shown]
	v_add_f64 v[76:77], v[24:25], v[14:15]
	v_add_f64 v[78:79], v[26:27], v[22:23]
	v_add_f64 v[80:81], v[24:25], -v[14:15]
	v_add_f64 v[82:83], v[26:27], -v[22:23]
	v_add_f64 v[28:29], v[32:33], v[28:29]
	v_add_f64 v[30:31], v[34:35], v[30:31]
	v_add_f64 v[14:15], v[14:15], -v[10:11]
	v_add_f64 v[22:23], v[22:23], -v[12:13]
	;; [unrolled: 1-line block ×4, first 2 shown]
	v_add_f64 v[10:11], v[76:77], v[10:11]
	v_add_f64 v[12:13], v[78:79], v[12:13]
	;; [unrolled: 1-line block ×4, first 2 shown]
	v_mul_f64 v[32:33], v[56:57], s[4:5]
	v_mul_f64 v[34:35], v[58:59], s[4:5]
	;; [unrolled: 1-line block ×8, first 2 shown]
	s_waitcnt lgkmcnt(0)
	v_mul_f64 v[18:19], v[186:187], v[90:91]
	v_mul_f64 v[20:21], v[186:187], v[88:89]
	v_fma_f64 v[28:29], v[28:29], s[14:15], v[2:3]
	v_fma_f64 v[30:31], v[30:31], s[14:15], v[4:5]
	v_fma_f64 v[36:37], v[36:37], s[0:1], v[32:33]
	v_fma_f64 v[38:39], v[38:39], s[0:1], v[34:35]
	v_fma_f64 v[56:57], v[60:61], s[16:17], -v[56:57]
	v_fma_f64 v[58:59], v[62:63], s[16:17], -v[58:59]
	;; [unrolled: 1-line block ×4, first 2 shown]
	v_fma_f64 v[60:61], v[24:25], s[20:21], v[76:77]
	v_fma_f64 v[62:63], v[26:27], s[20:21], v[78:79]
	v_fma_f64 v[14:15], v[14:15], s[6:7], -v[76:77]
	v_fma_f64 v[22:23], v[22:23], s[6:7], -v[78:79]
	;; [unrolled: 1-line block ×4, first 2 shown]
	v_add_f64 v[36:37], v[36:37], v[28:29]
	v_add_f64 v[38:39], v[38:39], v[30:31]
	;; [unrolled: 1-line block ×6, first 2 shown]
	v_fma_f64 v[32:33], v[12:13], s[22:23], v[62:63]
	v_fma_f64 v[34:35], v[10:11], s[22:23], v[60:61]
	;; [unrolled: 1-line block ×7, first 2 shown]
	v_fma_f64 v[78:79], v[184:185], v[90:91], -v[20:21]
	v_add_f64 v[10:11], v[32:33], v[36:37]
	v_add_f64 v[12:13], v[38:39], -v[34:35]
	v_add_f64 v[18:19], v[26:27], v[28:29]
	v_add_f64 v[20:21], v[30:31], -v[62:63]
	v_add_f64 v[22:23], v[56:57], -v[60:61]
	v_add_f64 v[24:25], v[14:15], v[58:59]
	v_add_f64 v[56:57], v[60:61], v[56:57]
	v_add_f64 v[58:59], v[58:59], -v[14:15]
	v_add_f64 v[60:61], v[28:29], -v[26:27]
	v_add_f64 v[62:63], v[62:63], v[30:31]
	v_add_f64 v[14:15], v[40:41], v[76:77]
	;; [unrolled: 1-line block ×3, first 2 shown]
	v_add_f64 v[28:29], v[40:41], -v[76:77]
	v_add_f64 v[30:31], v[42:43], -v[78:79]
	v_add_f64 v[40:41], v[84:85], v[72:73]
	v_add_f64 v[42:43], v[86:87], v[74:75]
	v_add_f64 v[72:73], v[84:85], -v[72:73]
	v_add_f64 v[74:75], v[86:87], -v[74:75]
	v_add_f64 v[76:77], v[64:65], v[68:69]
	v_add_f64 v[78:79], v[66:67], v[70:71]
	;; [unrolled: 4-line block ×3, first 2 shown]
	v_add_f64 v[80:81], v[40:41], -v[14:15]
	v_add_f64 v[82:83], v[42:43], -v[26:27]
	;; [unrolled: 1-line block ×6, first 2 shown]
	v_add_f64 v[84:85], v[64:65], v[72:73]
	v_add_f64 v[86:87], v[66:67], v[74:75]
	v_add_f64 v[88:89], v[64:65], -v[72:73]
	v_add_f64 v[90:91], v[66:67], -v[74:75]
	v_add_f64 v[68:69], v[76:77], v[68:69]
	v_add_f64 v[70:71], v[78:79], v[70:71]
	v_add_f64 v[72:73], v[72:73], -v[28:29]
	v_add_f64 v[74:75], v[74:75], -v[30:31]
	;; [unrolled: 1-line block ×4, first 2 shown]
	v_add_f64 v[28:29], v[84:85], v[28:29]
	v_add_f64 v[30:31], v[86:87], v[30:31]
	;; [unrolled: 1-line block ×4, first 2 shown]
	v_mul_f64 v[14:15], v[14:15], s[4:5]
	v_mul_f64 v[26:27], v[26:27], s[4:5]
	;; [unrolled: 1-line block ×8, first 2 shown]
	v_fma_f64 v[68:69], v[68:69], s[14:15], v[6:7]
	v_fma_f64 v[70:71], v[70:71], s[14:15], v[8:9]
	;; [unrolled: 1-line block ×4, first 2 shown]
	v_fma_f64 v[76:77], v[80:81], s[16:17], -v[76:77]
	v_fma_f64 v[78:79], v[82:83], s[16:17], -v[78:79]
	v_fma_f64 v[14:15], v[80:81], s[18:19], -v[14:15]
	v_fma_f64 v[26:27], v[82:83], s[18:19], -v[26:27]
	v_fma_f64 v[80:81], v[64:65], s[20:21], v[84:85]
	v_fma_f64 v[82:83], v[66:67], s[20:21], v[86:87]
	v_fma_f64 v[72:73], v[72:73], s[6:7], -v[84:85]
	v_fma_f64 v[74:75], v[74:75], s[6:7], -v[86:87]
	;; [unrolled: 1-line block ×4, first 2 shown]
	v_add_f64 v[40:41], v[40:41], v[68:69]
	v_add_f64 v[42:43], v[42:43], v[70:71]
	;; [unrolled: 1-line block ×6, first 2 shown]
	v_fma_f64 v[88:89], v[30:31], s[22:23], v[82:83]
	v_fma_f64 v[90:91], v[28:29], s[22:23], v[80:81]
	;; [unrolled: 1-line block ×6, first 2 shown]
	v_add_f64 v[64:65], v[36:37], -v[32:33]
	v_add_f64 v[66:67], v[34:35], v[38:39]
	v_add_f64 v[68:69], v[88:89], v[40:41]
	v_add_f64 v[70:71], v[42:43], -v[90:91]
	v_add_f64 v[72:73], v[92:93], v[14:15]
	v_add_f64 v[74:75], v[26:27], -v[94:95]
	v_add_f64 v[76:77], v[84:85], -v[30:31]
	v_add_f64 v[78:79], v[28:29], v[86:87]
	v_add_f64 v[80:81], v[30:31], v[84:85]
	v_add_f64 v[82:83], v[86:87], -v[28:29]
	v_add_f64 v[84:85], v[14:15], -v[92:93]
	v_add_f64 v[86:87], v[94:95], v[26:27]
	v_add_f64 v[88:89], v[40:41], -v[88:89]
	v_add_f64 v[90:91], v[90:91], v[42:43]
	ds_write_b128 v16, v[2:5]
	ds_write_b128 v16, v[10:13] offset:4032
	ds_write_b128 v16, v[18:21] offset:8064
	ds_write_b128 v16, v[22:25] offset:12096
	ds_write_b128 v16, v[56:59] offset:16128
	ds_write_b128 v16, v[60:63] offset:20160
	ds_write_b128 v16, v[64:67] offset:24192
	ds_write_b128 v16, v[6:9] offset:2016
	ds_write_b128 v16, v[68:71] offset:6048
	ds_write_b128 v16, v[72:75] offset:10080
	ds_write_b128 v16, v[76:79] offset:14112
	ds_write_b128 v16, v[80:83] offset:18144
	ds_write_b128 v16, v[84:87] offset:22176
	ds_write_b128 v16, v[88:91] offset:26208
	s_waitcnt lgkmcnt(0)
	s_barrier
	ds_read_b128 v[2:5], v16
	ds_read_b128 v[6:9], v16 offset:2016
	v_mad_u64_u32 v[21:22], s[0:1], s8, v17, 0
	v_mov_b32_e32 v25, s3
	s_waitcnt lgkmcnt(1)
	v_mul_f64 v[10:11], v[54:55], v[4:5]
	v_mad_u64_u32 v[12:13], s[0:1], s11, v98, v[1:2]
	v_mul_f64 v[13:14], v[54:55], v[2:3]
	s_mov_b32 s0, 0x5bb804a5
	v_mov_b32_e32 v1, v12
	s_mov_b32 s1, 0x3f429372
	v_lshlrev_b64 v[0:1], 4, v[0:1]
	v_fma_f64 v[10:11], v[52:53], v[2:3], v[10:11]
	v_mov_b32_e32 v2, v22
	v_add_co_u32_e32 v26, vcc, s2, v0
	v_fma_f64 v[12:13], v[52:53], v[4:5], -v[13:14]
	v_mad_u64_u32 v[14:15], s[4:5], s9, v17, v[2:3]
	ds_read_b128 v[2:5], v16 offset:14112
	ds_read_b128 v[17:20], v16 offset:12096
	buffer_load_dword v27, off, s[28:31], 0 offset:32 ; 4-byte Folded Reload
	buffer_load_dword v28, off, s[28:31], 0 offset:36 ; 4-byte Folded Reload
	;; [unrolled: 1-line block ×4, first 2 shown]
	v_mov_b32_e32 v22, v14
	v_mul_f64 v[10:11], v[10:11], s[0:1]
	v_mul_f64 v[12:13], v[12:13], s[0:1]
	v_addc_co_u32_e32 v25, vcc, v25, v1, vcc
	s_mul_i32 s2, s9, 0x3720
	s_mul_hi_u32 s3, s8, 0x3720
	s_add_i32 s2, s3, s2
	s_mul_i32 s3, s8, 0x3720
	s_mul_hi_u32 s5, s8, 0xffffd0c0
	s_mul_i32 s4, s9, 0xffffd0c0
	s_sub_i32 s5, s5, s8
	s_add_i32 s4, s5, s4
	s_mul_i32 s5, s8, 0xffffd0c0
	v_mov_b32_e32 v31, s4
	s_waitcnt vmcnt(0) lgkmcnt(1)
	v_mul_f64 v[14:15], v[29:30], v[4:5]
	v_mul_f64 v[23:24], v[29:30], v[2:3]
	v_fma_f64 v[0:1], v[27:28], v[2:3], v[14:15]
	v_lshlrev_b64 v[2:3], 4, v[21:22]
	v_fma_f64 v[4:5], v[27:28], v[4:5], -v[23:24]
	v_add_co_u32_e32 v14, vcc, v26, v2
	v_addc_co_u32_e32 v15, vcc, v25, v3, vcc
	global_store_dwordx4 v[14:15], v[10:13], off
	buffer_load_dword v23, off, s[28:31], 0 ; 4-byte Folded Reload
	buffer_load_dword v24, off, s[28:31], 0 offset:4 ; 4-byte Folded Reload
	buffer_load_dword v25, off, s[28:31], 0 offset:8 ; 4-byte Folded Reload
	;; [unrolled: 1-line block ×3, first 2 shown]
	v_mul_f64 v[0:1], v[0:1], s[0:1]
	v_mul_f64 v[2:3], v[4:5], s[0:1]
	v_mov_b32_e32 v22, s2
	v_add_co_u32_e32 v21, vcc, s3, v14
	v_addc_co_u32_e32 v22, vcc, v15, v22, vcc
	global_store_dwordx4 v[21:22], v[0:3], off
	ds_read_b128 v[0:3], v16 offset:16128
	v_add_co_u32_e32 v21, vcc, s5, v21
	v_addc_co_u32_e32 v22, vcc, v22, v31, vcc
	v_mov_b32_e32 v31, s2
	s_waitcnt vmcnt(1)
	v_mul_f64 v[10:11], v[25:26], v[8:9]
	v_mul_f64 v[12:13], v[25:26], v[6:7]
	v_fma_f64 v[4:5], v[23:24], v[6:7], v[10:11]
	v_fma_f64 v[6:7], v[23:24], v[8:9], -v[12:13]
	ds_read_b128 v[8:11], v16 offset:18144
	buffer_load_dword v27, off, s[28:31], 0 offset:16 ; 4-byte Folded Reload
	buffer_load_dword v28, off, s[28:31], 0 offset:20 ; 4-byte Folded Reload
	buffer_load_dword v29, off, s[28:31], 0 offset:24 ; 4-byte Folded Reload
	buffer_load_dword v30, off, s[28:31], 0 offset:28 ; 4-byte Folded Reload
	ds_read_b128 v[12:15], v16 offset:4032
	v_mul_f64 v[4:5], v[4:5], s[0:1]
	v_mul_f64 v[6:7], v[6:7], s[0:1]
	s_waitcnt vmcnt(0) lgkmcnt(2)
	v_mul_f64 v[23:24], v[29:30], v[2:3]
	v_mul_f64 v[25:26], v[29:30], v[0:1]
	v_fma_f64 v[23:24], v[27:28], v[0:1], v[23:24]
	v_fma_f64 v[25:26], v[27:28], v[2:3], -v[25:26]
	ds_read_b128 v[0:3], v16 offset:6048
	buffer_load_dword v32, off, s[28:31], 0 offset:48 ; 4-byte Folded Reload
	buffer_load_dword v33, off, s[28:31], 0 offset:52 ; 4-byte Folded Reload
	;; [unrolled: 1-line block ×4, first 2 shown]
	s_waitcnt vmcnt(0) lgkmcnt(1)
	v_mul_f64 v[27:28], v[34:35], v[14:15]
	v_mul_f64 v[29:30], v[34:35], v[12:13]
	global_store_dwordx4 v[21:22], v[4:7], off
	v_add_co_u32_e32 v21, vcc, s3, v21
	v_mul_f64 v[4:5], v[23:24], s[0:1]
	v_mul_f64 v[6:7], v[25:26], s[0:1]
	v_addc_co_u32_e32 v22, vcc, v22, v31, vcc
	v_fma_f64 v[12:13], v[32:33], v[12:13], v[27:28]
	v_fma_f64 v[14:15], v[32:33], v[14:15], -v[29:30]
	buffer_load_dword v32, off, s[28:31], 0 offset:88 ; 4-byte Folded Reload
	buffer_load_dword v33, off, s[28:31], 0 offset:92 ; 4-byte Folded Reload
	;; [unrolled: 1-line block ×4, first 2 shown]
	v_mov_b32_e32 v27, s4
	global_store_dwordx4 v[21:22], v[4:7], off
	v_add_co_u32_e32 v21, vcc, s5, v21
	v_mul_f64 v[4:5], v[12:13], s[0:1]
	v_mul_f64 v[6:7], v[14:15], s[0:1]
	v_addc_co_u32_e32 v22, vcc, v22, v27, vcc
	v_mov_b32_e32 v27, s2
	s_waitcnt vmcnt(1)
	v_mul_f64 v[23:24], v[34:35], v[10:11]
	v_mul_f64 v[25:26], v[34:35], v[8:9]
	v_fma_f64 v[8:9], v[32:33], v[8:9], v[23:24]
	v_fma_f64 v[10:11], v[32:33], v[10:11], -v[25:26]
	buffer_load_dword v23, off, s[28:31], 0 offset:120 ; 4-byte Folded Reload
	buffer_load_dword v24, off, s[28:31], 0 offset:124 ; 4-byte Folded Reload
	;; [unrolled: 1-line block ×4, first 2 shown]
	s_waitcnt vmcnt(0) lgkmcnt(0)
	v_mul_f64 v[12:13], v[25:26], v[2:3]
	v_mul_f64 v[14:15], v[25:26], v[0:1]
	global_store_dwordx4 v[21:22], v[4:7], off
	v_add_co_u32_e32 v21, vcc, s3, v21
	v_mul_f64 v[4:5], v[8:9], s[0:1]
	v_mul_f64 v[6:7], v[10:11], s[0:1]
	ds_read_b128 v[8:11], v16 offset:20160
	v_fma_f64 v[12:13], v[23:24], v[0:1], v[12:13]
	v_fma_f64 v[14:15], v[23:24], v[2:3], -v[14:15]
	ds_read_b128 v[0:3], v16 offset:22176
	buffer_load_dword v28, off, s[28:31], 0 offset:64 ; 4-byte Folded Reload
	buffer_load_dword v29, off, s[28:31], 0 offset:68 ; 4-byte Folded Reload
	;; [unrolled: 1-line block ×4, first 2 shown]
	v_addc_co_u32_e32 v22, vcc, v22, v27, vcc
	global_store_dwordx4 v[21:22], v[4:7], off
	v_add_co_u32_e32 v21, vcc, s5, v21
	v_mul_f64 v[4:5], v[12:13], s[0:1]
	v_mul_f64 v[6:7], v[14:15], s[0:1]
	ds_read_b128 v[12:15], v16 offset:8064
	s_waitcnt vmcnt(1) lgkmcnt(2)
	v_mul_f64 v[23:24], v[30:31], v[10:11]
	v_mul_f64 v[25:26], v[30:31], v[8:9]
	v_mov_b32_e32 v31, s4
	v_addc_co_u32_e32 v22, vcc, v22, v31, vcc
	v_mov_b32_e32 v31, s2
	v_fma_f64 v[23:24], v[28:29], v[8:9], v[23:24]
	v_fma_f64 v[25:26], v[28:29], v[10:11], -v[25:26]
	ds_read_b128 v[8:11], v16 offset:10080
	buffer_load_dword v32, off, s[28:31], 0 offset:104 ; 4-byte Folded Reload
	buffer_load_dword v33, off, s[28:31], 0 offset:108 ; 4-byte Folded Reload
	;; [unrolled: 1-line block ×4, first 2 shown]
	s_waitcnt vmcnt(0) lgkmcnt(1)
	v_mul_f64 v[27:28], v[34:35], v[14:15]
	v_mul_f64 v[29:30], v[34:35], v[12:13]
	global_store_dwordx4 v[21:22], v[4:7], off
	v_add_co_u32_e32 v21, vcc, s3, v21
	v_mul_f64 v[4:5], v[23:24], s[0:1]
	v_mul_f64 v[6:7], v[25:26], s[0:1]
	v_addc_co_u32_e32 v22, vcc, v22, v31, vcc
	v_fma_f64 v[12:13], v[32:33], v[12:13], v[27:28]
	v_fma_f64 v[14:15], v[32:33], v[14:15], -v[29:30]
	buffer_load_dword v32, off, s[28:31], 0 offset:168 ; 4-byte Folded Reload
	buffer_load_dword v33, off, s[28:31], 0 offset:172 ; 4-byte Folded Reload
	;; [unrolled: 1-line block ×4, first 2 shown]
	v_mov_b32_e32 v27, s4
	global_store_dwordx4 v[21:22], v[4:7], off
	v_add_co_u32_e32 v21, vcc, s5, v21
	v_mul_f64 v[4:5], v[12:13], s[0:1]
	v_mul_f64 v[6:7], v[14:15], s[0:1]
	s_waitcnt lgkmcnt(0)
	v_mul_f64 v[12:13], v[50:51], v[10:11]
	v_mul_f64 v[14:15], v[50:51], v[8:9]
	v_addc_co_u32_e32 v22, vcc, v22, v27, vcc
	v_mov_b32_e32 v27, s2
	global_store_dwordx4 v[21:22], v[4:7], off
	ds_read_b128 v[4:7], v16 offset:24192
	v_fma_f64 v[12:13], v[48:49], v[8:9], v[12:13]
	v_fma_f64 v[14:15], v[48:49], v[10:11], -v[14:15]
	ds_read_b128 v[8:11], v16 offset:26208
	buffer_load_dword v28, off, s[28:31], 0 offset:136 ; 4-byte Folded Reload
	buffer_load_dword v29, off, s[28:31], 0 offset:140 ; 4-byte Folded Reload
	;; [unrolled: 1-line block ×4, first 2 shown]
	v_add_co_u32_e32 v21, vcc, s3, v21
	v_addc_co_u32_e32 v22, vcc, v22, v27, vcc
	v_mov_b32_e32 v16, s2
	s_waitcnt vmcnt(6)
	v_mul_f64 v[23:24], v[34:35], v[2:3]
	v_mul_f64 v[25:26], v[34:35], v[0:1]
	v_fma_f64 v[0:1], v[32:33], v[0:1], v[23:24]
	v_fma_f64 v[2:3], v[32:33], v[2:3], -v[25:26]
	v_mul_f64 v[0:1], v[0:1], s[0:1]
	v_mul_f64 v[2:3], v[2:3], s[0:1]
	s_waitcnt vmcnt(0) lgkmcnt(1)
	v_mul_f64 v[23:24], v[30:31], v[6:7]
	v_mul_f64 v[25:26], v[30:31], v[4:5]
	global_store_dwordx4 v[21:22], v[0:3], off
	s_nop 0
	v_mul_f64 v[0:1], v[12:13], s[0:1]
	v_mov_b32_e32 v13, s4
	v_fma_f64 v[4:5], v[28:29], v[4:5], v[23:24]
	v_fma_f64 v[6:7], v[28:29], v[6:7], -v[25:26]
	buffer_load_dword v27, off, s[28:31], 0 offset:152 ; 4-byte Folded Reload
	buffer_load_dword v28, off, s[28:31], 0 offset:156 ; 4-byte Folded Reload
	;; [unrolled: 1-line block ×4, first 2 shown]
	v_add_co_u32_e32 v12, vcc, s5, v21
	v_mul_f64 v[2:3], v[14:15], s[0:1]
	v_addc_co_u32_e32 v13, vcc, v22, v13, vcc
	s_waitcnt lgkmcnt(0)
	v_mul_f64 v[23:24], v[46:47], v[10:11]
	v_mul_f64 v[25:26], v[46:47], v[8:9]
	global_store_dwordx4 v[12:13], v[0:3], off
	s_nop 0
	v_mul_f64 v[0:1], v[4:5], s[0:1]
	v_mul_f64 v[2:3], v[6:7], s[0:1]
	v_fma_f64 v[8:9], v[44:45], v[8:9], v[23:24]
	v_fma_f64 v[10:11], v[44:45], v[10:11], -v[25:26]
	v_add_co_u32_e32 v12, vcc, s3, v12
	v_addc_co_u32_e32 v13, vcc, v13, v16, vcc
	global_store_dwordx4 v[12:13], v[0:3], off
	s_waitcnt vmcnt(2)
	v_mul_f64 v[14:15], v[29:30], v[19:20]
	v_mul_f64 v[21:22], v[29:30], v[17:18]
	v_fma_f64 v[4:5], v[27:28], v[17:18], v[14:15]
	v_fma_f64 v[6:7], v[27:28], v[19:20], -v[21:22]
	v_mov_b32_e32 v14, s4
	v_mul_f64 v[0:1], v[4:5], s[0:1]
	v_mul_f64 v[2:3], v[6:7], s[0:1]
	;; [unrolled: 1-line block ×4, first 2 shown]
	v_add_co_u32_e32 v8, vcc, s5, v12
	v_addc_co_u32_e32 v9, vcc, v13, v14, vcc
	global_store_dwordx4 v[8:9], v[0:3], off
	s_nop 0
	v_mov_b32_e32 v1, s2
	v_add_co_u32_e32 v0, vcc, s3, v8
	v_addc_co_u32_e32 v1, vcc, v9, v1, vcc
	global_store_dwordx4 v[0:1], v[4:7], off
.LBB0_18:
	s_endpgm
	.section	.rodata,"a",@progbits
	.p2align	6, 0x0
	.amdhsa_kernel bluestein_single_back_len1764_dim1_dp_op_CI_CI
		.amdhsa_group_segment_fixed_size 28224
		.amdhsa_private_segment_fixed_size 296
		.amdhsa_kernarg_size 104
		.amdhsa_user_sgpr_count 6
		.amdhsa_user_sgpr_private_segment_buffer 1
		.amdhsa_user_sgpr_dispatch_ptr 0
		.amdhsa_user_sgpr_queue_ptr 0
		.amdhsa_user_sgpr_kernarg_segment_ptr 1
		.amdhsa_user_sgpr_dispatch_id 0
		.amdhsa_user_sgpr_flat_scratch_init 0
		.amdhsa_user_sgpr_private_segment_size 0
		.amdhsa_uses_dynamic_stack 0
		.amdhsa_system_sgpr_private_segment_wavefront_offset 1
		.amdhsa_system_sgpr_workgroup_id_x 1
		.amdhsa_system_sgpr_workgroup_id_y 0
		.amdhsa_system_sgpr_workgroup_id_z 0
		.amdhsa_system_sgpr_workgroup_info 0
		.amdhsa_system_vgpr_workitem_id 0
		.amdhsa_next_free_vgpr 256
		.amdhsa_next_free_sgpr 32
		.amdhsa_reserve_vcc 1
		.amdhsa_reserve_flat_scratch 0
		.amdhsa_float_round_mode_32 0
		.amdhsa_float_round_mode_16_64 0
		.amdhsa_float_denorm_mode_32 3
		.amdhsa_float_denorm_mode_16_64 3
		.amdhsa_dx10_clamp 1
		.amdhsa_ieee_mode 1
		.amdhsa_fp16_overflow 0
		.amdhsa_exception_fp_ieee_invalid_op 0
		.amdhsa_exception_fp_denorm_src 0
		.amdhsa_exception_fp_ieee_div_zero 0
		.amdhsa_exception_fp_ieee_overflow 0
		.amdhsa_exception_fp_ieee_underflow 0
		.amdhsa_exception_fp_ieee_inexact 0
		.amdhsa_exception_int_div_zero 0
	.end_amdhsa_kernel
	.text
.Lfunc_end0:
	.size	bluestein_single_back_len1764_dim1_dp_op_CI_CI, .Lfunc_end0-bluestein_single_back_len1764_dim1_dp_op_CI_CI
                                        ; -- End function
	.section	.AMDGPU.csdata,"",@progbits
; Kernel info:
; codeLenInByte = 21280
; NumSgprs: 36
; NumVgprs: 256
; ScratchSize: 296
; MemoryBound: 0
; FloatMode: 240
; IeeeMode: 1
; LDSByteSize: 28224 bytes/workgroup (compile time only)
; SGPRBlocks: 4
; VGPRBlocks: 63
; NumSGPRsForWavesPerEU: 36
; NumVGPRsForWavesPerEU: 256
; Occupancy: 1
; WaveLimiterHint : 1
; COMPUTE_PGM_RSRC2:SCRATCH_EN: 1
; COMPUTE_PGM_RSRC2:USER_SGPR: 6
; COMPUTE_PGM_RSRC2:TRAP_HANDLER: 0
; COMPUTE_PGM_RSRC2:TGID_X_EN: 1
; COMPUTE_PGM_RSRC2:TGID_Y_EN: 0
; COMPUTE_PGM_RSRC2:TGID_Z_EN: 0
; COMPUTE_PGM_RSRC2:TIDIG_COMP_CNT: 0
	.type	__hip_cuid_3d390a996ecbcdf0,@object ; @__hip_cuid_3d390a996ecbcdf0
	.section	.bss,"aw",@nobits
	.globl	__hip_cuid_3d390a996ecbcdf0
__hip_cuid_3d390a996ecbcdf0:
	.byte	0                               ; 0x0
	.size	__hip_cuid_3d390a996ecbcdf0, 1

	.ident	"AMD clang version 19.0.0git (https://github.com/RadeonOpenCompute/llvm-project roc-6.4.0 25133 c7fe45cf4b819c5991fe208aaa96edf142730f1d)"
	.section	".note.GNU-stack","",@progbits
	.addrsig
	.addrsig_sym __hip_cuid_3d390a996ecbcdf0
	.amdgpu_metadata
---
amdhsa.kernels:
  - .args:
      - .actual_access:  read_only
        .address_space:  global
        .offset:         0
        .size:           8
        .value_kind:     global_buffer
      - .actual_access:  read_only
        .address_space:  global
        .offset:         8
        .size:           8
        .value_kind:     global_buffer
      - .actual_access:  read_only
        .address_space:  global
        .offset:         16
        .size:           8
        .value_kind:     global_buffer
      - .actual_access:  read_only
        .address_space:  global
        .offset:         24
        .size:           8
        .value_kind:     global_buffer
      - .actual_access:  read_only
        .address_space:  global
        .offset:         32
        .size:           8
        .value_kind:     global_buffer
      - .offset:         40
        .size:           8
        .value_kind:     by_value
      - .address_space:  global
        .offset:         48
        .size:           8
        .value_kind:     global_buffer
      - .address_space:  global
        .offset:         56
        .size:           8
        .value_kind:     global_buffer
      - .address_space:  global
        .offset:         64
        .size:           8
        .value_kind:     global_buffer
      - .address_space:  global
        .offset:         72
        .size:           8
        .value_kind:     global_buffer
      - .offset:         80
        .size:           4
        .value_kind:     by_value
      - .address_space:  global
        .offset:         88
        .size:           8
        .value_kind:     global_buffer
      - .address_space:  global
        .offset:         96
        .size:           8
        .value_kind:     global_buffer
    .group_segment_fixed_size: 28224
    .kernarg_segment_align: 8
    .kernarg_segment_size: 104
    .language:       OpenCL C
    .language_version:
      - 2
      - 0
    .max_flat_workgroup_size: 126
    .name:           bluestein_single_back_len1764_dim1_dp_op_CI_CI
    .private_segment_fixed_size: 296
    .sgpr_count:     36
    .sgpr_spill_count: 0
    .symbol:         bluestein_single_back_len1764_dim1_dp_op_CI_CI.kd
    .uniform_work_group_size: 1
    .uses_dynamic_stack: false
    .vgpr_count:     256
    .vgpr_spill_count: 73
    .wavefront_size: 64
amdhsa.target:   amdgcn-amd-amdhsa--gfx906
amdhsa.version:
  - 1
  - 2
...

	.end_amdgpu_metadata
